;; amdgpu-corpus repo=ROCm/rocm-libraries kind=compiled arch=gfx1250 opt=O3
	.amdgcn_target "amdgcn-amd-amdhsa--gfx1250"
	.amdhsa_code_object_version 6
	.text
	.protected	UniversalTranspose      ; -- Begin function UniversalTranspose
	.globl	UniversalTranspose
	.p2align	8
	.type	UniversalTranspose,@function
UniversalTranspose:                     ; @UniversalTranspose
; %bb.0:
	s_clause 0x2
	s_load_b32 s3, s[0:1], 0x94
	s_load_b512 s[4:19], s[0:1], 0x10
	s_load_b32 s2, s[0:1], 0x88
	s_bfe_u32 s20, ttmp6, 0x4000c
	v_mov_b32_e32 v2, 0
	s_load_b128 s[28:31], s[0:1], 0x0
	s_add_co_i32 s35, s20, 1
	s_clause 0x1
	s_load_b256 s[20:27], s[0:1], 0x70
	s_load_b256 s[36:43], s[0:1], 0x50
	s_and_b32 s33, ttmp6, 15
	s_wait_kmcnt 0x0
	s_mul_i32 s27, ttmp9, s35
	s_getreg_b32 s34, hwreg(HW_REG_IB_STS2, 6, 4)
	v_mov_b32_e32 v1, v2
	s_add_co_i32 s33, s33, s27
	s_and_b32 s26, s3, 0xffff
	s_cmp_eq_u32 s34, 0
	s_mul_u64 s[10:11], s[12:13], s[10:11]
	s_cselect_b32 s0, ttmp9, s33
	s_mul_u64 s[8:9], s[10:11], s[8:9]
	v_mad_nc_u64_u32 v[0:1], s26, s0, v[0:1]
	s_mov_b32 s3, 0
	s_mul_u64 s[6:7], s[8:9], s[6:7]
	s_mov_b32 s27, s3
	s_mul_u64 s[4:5], s[6:7], s[4:5]
	s_mul_u64 s[26:27], s[26:27], s[2:3]
	s_mov_b32 s0, exec_lo
	s_delay_alu instid0(VALU_DEP_1)
	v_cmpx_gt_u64_e64 s[4:5], v[0:1]
	s_cbranch_execnz .LBB0_3
.LBB0_1:
	s_endpgm
.LBB0_2:                                ;   in Loop: Header=BB0_3 Depth=1
	s_or_b32 exec_lo, exec_lo, s0
	s_delay_alu instid0(VALU_DEP_1)
	v_mul_u64_e32 v[12:13], s[12:13], v[14:15]
	v_mul_u64_e32 v[16:17], s[14:15], v[4:5]
	;; [unrolled: 1-line block ×7, first 2 shown]
	v_add_nc_u64_e32 v[0:1], s[26:27], v[0:1]
	s_delay_alu instid0(VALU_DEP_1)
	v_cmp_le_u64_e32 vcc_lo, s[4:5], v[0:1]
	s_or_b32 s3, vcc_lo, s3
	v_sub_nc_u64_e32 v[10:11], v[10:11], v[12:13]
	v_mul_u64_e32 v[12:13], s[36:37], v[14:15]
	v_lshl_add_u64 v[16:17], v[16:17], 2, s[28:29]
	v_lshl_add_u64 v[4:5], v[4:5], 2, s[30:31]
	s_delay_alu instid0(VALU_DEP_2) | instskip(SKIP_2) | instid1(VALU_DEP_4)
	v_lshl_add_u64 v[16:17], v[18:19], 2, v[16:17]
	v_mul_u64_e32 v[22:23], s[38:39], v[10:11]
	v_mul_u64_e32 v[10:11], s[24:25], v[10:11]
	v_lshl_add_u64 v[4:5], v[6:7], 2, v[4:5]
	s_delay_alu instid0(VALU_DEP_4) | instskip(NEXT) | instid1(VALU_DEP_2)
	v_lshl_add_u64 v[16:17], v[20:21], 2, v[16:17]
	v_lshl_add_u64 v[4:5], v[8:9], 2, v[4:5]
	s_delay_alu instid0(VALU_DEP_2) | instskip(NEXT) | instid1(VALU_DEP_1)
	v_lshl_add_u64 v[12:13], v[12:13], 2, v[16:17]
	v_lshl_add_u64 v[12:13], v[22:23], 2, v[12:13]
	global_load_b32 v3, v[12:13], off
	s_wait_xcnt 0x0
	v_mul_u64_e32 v[12:13], s[22:23], v[14:15]
	s_delay_alu instid0(VALU_DEP_1) | instskip(NEXT) | instid1(VALU_DEP_1)
	v_lshl_add_u64 v[4:5], v[12:13], 2, v[4:5]
	v_lshl_add_u64 v[4:5], v[10:11], 2, v[4:5]
	s_wait_loadcnt 0x0
	global_store_b32 v[4:5], v3, off
	s_wait_xcnt 0x0
	s_and_not1_b32 exec_lo, exec_lo, s3
	s_cbranch_execz .LBB0_1
.LBB0_3:                                ; =>This Inner Loop Header: Depth=1
	v_or_b32_e32 v3, s7, v1
                                        ; implicit-def: $vgpr4_vgpr5
	s_mov_b32 s0, exec_lo
	s_delay_alu instid0(VALU_DEP_1)
	v_cmpx_ne_u64_e32 0, v[2:3]
	s_xor_b32 s1, exec_lo, s0
	s_cbranch_execz .LBB0_5
; %bb.4:                                ;   in Loop: Header=BB0_3 Depth=1
	s_cvt_f32_u32 s0, s6
	s_cvt_f32_u32 s2, s7
	s_sub_nc_u64 s[44:45], 0, s[6:7]
	s_mov_b32 s49, 0
	v_dual_mov_b32 v5, 0 :: v_dual_mov_b32 v4, v0
	s_fmamk_f32 s0, s2, 0x4f800000, s0
	s_delay_alu instid0(SALU_CYCLE_3) | instskip(NEXT) | instid1(TRANS32_DEP_1)
	v_s_rcp_f32 s0, s0
	s_mul_f32 s0, s0, 0x5f7ffffc
	s_delay_alu instid0(SALU_CYCLE_3) | instskip(NEXT) | instid1(SALU_CYCLE_3)
	s_mul_f32 s2, s0, 0x2f800000
	s_trunc_f32 s2, s2
	s_delay_alu instid0(SALU_CYCLE_3) | instskip(SKIP_1) | instid1(SALU_CYCLE_2)
	s_fmamk_f32 s0, s2, 0xcf800000, s0
	s_cvt_u32_f32 s35, s2
	s_cvt_u32_f32 s34, s0
	s_delay_alu instid0(SALU_CYCLE_3) | instskip(NEXT) | instid1(SALU_CYCLE_1)
	s_mul_u64 s[46:47], s[44:45], s[34:35]
	s_mul_hi_u32 s51, s34, s47
	s_mul_i32 s50, s34, s47
	s_mul_hi_u32 s48, s34, s46
	s_mul_i32 s2, s35, s46
	s_add_nc_u64 s[50:51], s[48:49], s[50:51]
	s_mul_hi_u32 s0, s35, s46
	s_mul_hi_u32 s33, s35, s47
	s_add_co_u32 s2, s50, s2
	s_add_co_ci_u32 s48, s51, s0
	s_mul_i32 s46, s35, s47
	s_add_co_ci_u32 s47, s33, 0
	s_delay_alu instid0(SALU_CYCLE_1) | instskip(NEXT) | instid1(SALU_CYCLE_1)
	s_add_nc_u64 s[46:47], s[48:49], s[46:47]
	s_add_co_u32 s34, s34, s46
	s_cselect_b32 s0, -1, 0
	s_delay_alu instid0(SALU_CYCLE_1) | instskip(SKIP_1) | instid1(SALU_CYCLE_1)
	s_cmp_lg_u32 s0, 0
	s_add_co_ci_u32 s35, s35, s47
	s_mul_u64 s[44:45], s[44:45], s[34:35]
	s_delay_alu instid0(SALU_CYCLE_1)
	s_mul_hi_u32 s47, s34, s45
	s_mul_i32 s46, s34, s45
	s_mul_hi_u32 s48, s34, s44
	s_mul_i32 s2, s35, s44
	s_add_nc_u64 s[46:47], s[48:49], s[46:47]
	s_mul_hi_u32 s0, s35, s44
	s_mul_hi_u32 s33, s35, s45
	s_add_co_u32 s2, s46, s2
	s_add_co_ci_u32 s48, s47, s0
	s_mul_i32 s44, s35, s45
	s_add_co_ci_u32 s45, s33, 0
	s_delay_alu instid0(SALU_CYCLE_1) | instskip(NEXT) | instid1(SALU_CYCLE_1)
	s_add_nc_u64 s[44:45], s[48:49], s[44:45]
	s_add_co_u32 s0, s34, s44
	s_cselect_b32 s2, -1, 0
	s_delay_alu instid0(SALU_CYCLE_1)
	s_cmp_lg_u32 s2, 0
	s_add_co_ci_u32 s48, s35, s45
	s_mov_b64 s[34:35], 0xffffffff
	v_mul_u64_e32 v[6:7], s[48:49], v[4:5]
	v_mul_hi_u32 v4, v0, s0
	s_and_b64 s[34:35], s[0:1], s[34:35]
	s_delay_alu instid0(VALU_DEP_1) | instskip(SKIP_1) | instid1(VALU_DEP_1)
	v_add_nc_u64_e32 v[6:7], v[4:5], v[6:7]
	v_mov_b32_e32 v4, v1
	v_mul_u64_e32 v[8:9], s[34:35], v[4:5]
	v_mul_u64_e32 v[10:11], s[48:49], v[4:5]
	s_delay_alu instid0(VALU_DEP_2) | instskip(NEXT) | instid1(VALU_DEP_3)
	v_add_co_u32 v3, vcc_lo, v6, v8
	v_add_co_ci_u32_e32 v4, vcc_lo, v7, v9, vcc_lo
	s_delay_alu instid0(VALU_DEP_3) | instskip(NEXT) | instid1(VALU_DEP_1)
	v_add_co_ci_u32_e32 v11, vcc_lo, 0, v11, vcc_lo
	v_add_nc_u64_e32 v[4:5], v[4:5], v[10:11]
	s_delay_alu instid0(VALU_DEP_1) | instskip(SKIP_1) | instid1(VALU_DEP_2)
	v_mul_u64_e32 v[6:7], s[6:7], v[4:5]
	v_add_nc_u64_e32 v[8:9], 2, v[4:5]
	v_sub_nc_u32_e32 v3, v1, v7
	s_delay_alu instid0(VALU_DEP_3) | instskip(NEXT) | instid1(VALU_DEP_1)
	v_sub_co_u32 v6, vcc_lo, v0, v6
	v_sub_co_ci_u32_e64 v12, null, v1, v7, vcc_lo
	s_delay_alu instid0(VALU_DEP_3) | instskip(NEXT) | instid1(VALU_DEP_3)
	v_subrev_co_ci_u32_e64 v3, null, s7, v3, vcc_lo
	v_sub_co_u32 v10, s0, v6, s6
	v_cmp_le_u32_e32 vcc_lo, s6, v6
	s_delay_alu instid0(VALU_DEP_3) | instskip(NEXT) | instid1(VALU_DEP_3)
	v_subrev_co_ci_u32_e64 v3, null, 0, v3, s0
	v_cmp_le_u32_e64 s0, s6, v10
	v_add_nc_u64_e32 v[6:7], 1, v[4:5]
	v_cndmask_b32_e64 v13, 0, -1, vcc_lo
	s_delay_alu instid0(VALU_DEP_4) | instskip(NEXT) | instid1(VALU_DEP_4)
	v_cmp_eq_u32_e32 vcc_lo, s7, v3
	v_cndmask_b32_e64 v10, 0, -1, s0
	v_cmp_le_u32_e64 s0, s7, v3
	s_delay_alu instid0(VALU_DEP_1) | instskip(SKIP_1) | instid1(VALU_DEP_2)
	v_cndmask_b32_e64 v11, 0, -1, s0
	v_cmp_eq_u32_e64 s0, s7, v12
	v_cndmask_b32_e32 v3, v11, v10, vcc_lo
	v_cmp_le_u32_e32 vcc_lo, s7, v12
	v_cndmask_b32_e64 v10, 0, -1, vcc_lo
	s_delay_alu instid0(VALU_DEP_3) | instskip(SKIP_1) | instid1(VALU_DEP_3)
	v_cmp_ne_u32_e32 vcc_lo, 0, v3
	v_dual_cndmask_b32 v6, v6, v8 :: v_dual_cndmask_b32 v7, v7, v9
	v_cndmask_b32_e64 v3, v10, v13, s0
	s_delay_alu instid0(VALU_DEP_1) | instskip(NEXT) | instid1(VALU_DEP_3)
	v_cmp_ne_u32_e32 vcc_lo, 0, v3
	v_dual_cndmask_b32 v4, v4, v6 :: v_dual_cndmask_b32 v5, v5, v7
.LBB0_5:                                ;   in Loop: Header=BB0_3 Depth=1
	s_and_not1_saveexec_b32 s0, s1
	s_cbranch_execz .LBB0_7
; %bb.6:                                ;   in Loop: Header=BB0_3 Depth=1
	v_cvt_f32_u32_e32 v3, s6
	s_sub_co_i32 s1, 0, s6
	s_delay_alu instid0(VALU_DEP_1) | instskip(SKIP_1) | instid1(TRANS32_DEP_1)
	v_rcp_iflag_f32_e32 v3, v3
	v_nop
	v_mul_f32_e32 v3, 0x4f7ffffe, v3
	s_delay_alu instid0(VALU_DEP_1) | instskip(NEXT) | instid1(VALU_DEP_1)
	v_cvt_u32_f32_e32 v3, v3
	v_mul_lo_u32 v4, s1, v3
	s_delay_alu instid0(VALU_DEP_1) | instskip(NEXT) | instid1(VALU_DEP_1)
	v_mul_hi_u32 v4, v3, v4
	v_add_nc_u32_e32 v3, v3, v4
	s_delay_alu instid0(VALU_DEP_1) | instskip(NEXT) | instid1(VALU_DEP_1)
	v_mul_hi_u32 v3, v0, v3
	v_mul_lo_u32 v4, v3, s6
	s_delay_alu instid0(VALU_DEP_1) | instskip(NEXT) | instid1(VALU_DEP_1)
	v_dual_add_nc_u32 v5, 1, v3 :: v_dual_sub_nc_u32 v4, v0, v4
	v_subrev_nc_u32_e32 v6, s6, v4
	v_cmp_le_u32_e32 vcc_lo, s6, v4
	s_delay_alu instid0(VALU_DEP_2) | instskip(NEXT) | instid1(VALU_DEP_1)
	v_dual_cndmask_b32 v4, v4, v6 :: v_dual_cndmask_b32 v3, v3, v5
	v_cmp_le_u32_e32 vcc_lo, s6, v4
	s_delay_alu instid0(VALU_DEP_2) | instskip(NEXT) | instid1(VALU_DEP_1)
	v_add_nc_u32_e32 v5, 1, v3
	v_dual_cndmask_b32 v4, v3, v5 :: v_dual_mov_b32 v5, 0
.LBB0_7:                                ;   in Loop: Header=BB0_3 Depth=1
	s_or_b32 exec_lo, exec_lo, s0
	s_delay_alu instid0(VALU_DEP_1) | instskip(SKIP_2) | instid1(VALU_DEP_2)
	v_mul_u64_e32 v[6:7], s[6:7], v[4:5]
	s_mov_b32 s0, exec_lo
	v_mov_b32_e32 v10, 0
	v_sub_nc_u64_e32 v[8:9], v[0:1], v[6:7]
                                        ; implicit-def: $vgpr6_vgpr7
	s_delay_alu instid0(VALU_DEP_1) | instskip(NEXT) | instid1(VALU_DEP_1)
	v_or_b32_e32 v11, s9, v9
	v_cmpx_ne_u64_e32 0, v[10:11]
	s_xor_b32 s1, exec_lo, s0
	s_cbranch_execz .LBB0_9
; %bb.8:                                ;   in Loop: Header=BB0_3 Depth=1
	s_cvt_f32_u32 s0, s8
	s_cvt_f32_u32 s2, s9
	s_sub_nc_u64 s[44:45], 0, s[8:9]
	s_mov_b32 s49, 0
	v_dual_mov_b32 v6, v8 :: v_dual_mov_b32 v7, v10
	s_fmamk_f32 s0, s2, 0x4f800000, s0
	v_dual_mov_b32 v12, v9 :: v_dual_mov_b32 v13, v10
	v_dual_mov_b32 v17, v10 :: v_dual_mov_b32 v11, v10
	s_delay_alu instid0(SALU_CYCLE_1) | instskip(NEXT) | instid1(TRANS32_DEP_1)
	v_s_rcp_f32 s0, s0
	s_mul_f32 s0, s0, 0x5f7ffffc
	s_delay_alu instid0(SALU_CYCLE_3) | instskip(NEXT) | instid1(SALU_CYCLE_3)
	s_mul_f32 s2, s0, 0x2f800000
	s_trunc_f32 s2, s2
	s_delay_alu instid0(SALU_CYCLE_3) | instskip(SKIP_1) | instid1(SALU_CYCLE_2)
	s_fmamk_f32 s0, s2, 0xcf800000, s0
	s_cvt_u32_f32 s35, s2
	s_cvt_u32_f32 s34, s0
	s_delay_alu instid0(SALU_CYCLE_3) | instskip(NEXT) | instid1(SALU_CYCLE_1)
	s_mul_u64 s[46:47], s[44:45], s[34:35]
	s_mul_hi_u32 s51, s34, s47
	s_mul_i32 s50, s34, s47
	s_mul_hi_u32 s48, s34, s46
	s_mul_i32 s2, s35, s46
	s_add_nc_u64 s[50:51], s[48:49], s[50:51]
	s_mul_hi_u32 s0, s35, s46
	s_mul_hi_u32 s33, s35, s47
	s_add_co_u32 s2, s50, s2
	s_add_co_ci_u32 s48, s51, s0
	s_mul_i32 s46, s35, s47
	s_add_co_ci_u32 s47, s33, 0
	s_delay_alu instid0(SALU_CYCLE_1) | instskip(NEXT) | instid1(SALU_CYCLE_1)
	s_add_nc_u64 s[46:47], s[48:49], s[46:47]
	s_add_co_u32 s34, s34, s46
	s_cselect_b32 s0, -1, 0
	s_delay_alu instid0(SALU_CYCLE_1) | instskip(SKIP_1) | instid1(SALU_CYCLE_1)
	s_cmp_lg_u32 s0, 0
	s_add_co_ci_u32 s35, s35, s47
	s_mul_u64 s[44:45], s[44:45], s[34:35]
	s_delay_alu instid0(SALU_CYCLE_1)
	s_mul_hi_u32 s47, s34, s45
	s_mul_i32 s46, s34, s45
	s_mul_hi_u32 s48, s34, s44
	s_mul_i32 s2, s35, s44
	s_add_nc_u64 s[46:47], s[48:49], s[46:47]
	s_mul_hi_u32 s0, s35, s44
	s_mul_hi_u32 s33, s35, s45
	s_add_co_u32 s2, s46, s2
	s_add_co_ci_u32 s48, s47, s0
	s_mul_i32 s44, s35, s45
	s_add_co_ci_u32 s45, s33, 0
	s_delay_alu instid0(SALU_CYCLE_1) | instskip(NEXT) | instid1(SALU_CYCLE_1)
	s_add_nc_u64 s[44:45], s[48:49], s[44:45]
	s_add_co_u32 s0, s34, s44
	s_cselect_b32 s2, -1, 0
	v_nop
	v_mul_hi_u32 v16, v8, s0
	s_cmp_lg_u32 s2, 0
	s_add_co_ci_u32 s48, s35, s45
	s_mov_b64 s[34:35], 0xffffffff
	v_mul_u64_e32 v[6:7], s[48:49], v[6:7]
	s_and_b64 s[34:35], s[0:1], s[34:35]
	s_delay_alu instid0(SALU_CYCLE_1) | instskip(SKIP_1) | instid1(VALU_DEP_3)
	v_mul_u64_e32 v[14:15], s[34:35], v[12:13]
	v_mul_u64_e32 v[12:13], s[48:49], v[12:13]
	v_add_nc_u64_e32 v[6:7], v[16:17], v[6:7]
	s_delay_alu instid0(VALU_DEP_1) | instskip(NEXT) | instid1(VALU_DEP_2)
	v_add_co_u32 v3, vcc_lo, v6, v14
	v_add_co_ci_u32_e32 v10, vcc_lo, v7, v15, vcc_lo
	s_delay_alu instid0(VALU_DEP_4) | instskip(NEXT) | instid1(VALU_DEP_1)
	v_add_co_ci_u32_e32 v13, vcc_lo, 0, v13, vcc_lo
	v_add_nc_u64_e32 v[6:7], v[10:11], v[12:13]
	s_delay_alu instid0(VALU_DEP_1) | instskip(SKIP_1) | instid1(VALU_DEP_2)
	v_mul_u64_e32 v[10:11], s[8:9], v[6:7]
	v_add_nc_u64_e32 v[12:13], 2, v[6:7]
	v_sub_nc_u32_e32 v3, v9, v11
	s_delay_alu instid0(VALU_DEP_3) | instskip(NEXT) | instid1(VALU_DEP_1)
	v_sub_co_u32 v10, vcc_lo, v8, v10
	v_sub_co_ci_u32_e64 v16, null, v9, v11, vcc_lo
	s_delay_alu instid0(VALU_DEP_3) | instskip(NEXT) | instid1(VALU_DEP_3)
	v_subrev_co_ci_u32_e64 v3, null, s9, v3, vcc_lo
	v_sub_co_u32 v14, s0, v10, s8
	v_cmp_le_u32_e32 vcc_lo, s8, v10
	s_delay_alu instid0(VALU_DEP_3) | instskip(NEXT) | instid1(VALU_DEP_3)
	v_subrev_co_ci_u32_e64 v3, null, 0, v3, s0
	v_cmp_le_u32_e64 s0, s8, v14
	v_add_nc_u64_e32 v[10:11], 1, v[6:7]
	v_cndmask_b32_e64 v17, 0, -1, vcc_lo
	s_delay_alu instid0(VALU_DEP_4) | instskip(NEXT) | instid1(VALU_DEP_4)
	v_cmp_eq_u32_e32 vcc_lo, s9, v3
	v_cndmask_b32_e64 v14, 0, -1, s0
	v_cmp_le_u32_e64 s0, s9, v3
	s_delay_alu instid0(VALU_DEP_1) | instskip(SKIP_1) | instid1(VALU_DEP_2)
	v_cndmask_b32_e64 v15, 0, -1, s0
	v_cmp_eq_u32_e64 s0, s9, v16
	v_cndmask_b32_e32 v3, v15, v14, vcc_lo
	v_cmp_le_u32_e32 vcc_lo, s9, v16
	v_cndmask_b32_e64 v14, 0, -1, vcc_lo
	s_delay_alu instid0(VALU_DEP_3) | instskip(SKIP_1) | instid1(VALU_DEP_3)
	v_cmp_ne_u32_e32 vcc_lo, 0, v3
	v_cndmask_b32_e32 v11, v11, v13, vcc_lo
	v_cndmask_b32_e64 v3, v14, v17, s0
	v_cndmask_b32_e32 v10, v10, v12, vcc_lo
	s_delay_alu instid0(VALU_DEP_2) | instskip(NEXT) | instid1(VALU_DEP_2)
	v_cmp_ne_u32_e32 vcc_lo, 0, v3
	v_dual_cndmask_b32 v7, v7, v11 :: v_dual_cndmask_b32 v6, v6, v10
.LBB0_9:                                ;   in Loop: Header=BB0_3 Depth=1
	s_and_not1_saveexec_b32 s0, s1
	s_cbranch_execz .LBB0_11
; %bb.10:                               ;   in Loop: Header=BB0_3 Depth=1
	v_cvt_f32_u32_e32 v3, s8
	s_sub_co_i32 s1, 0, s8
	s_delay_alu instid0(VALU_DEP_1) | instskip(SKIP_1) | instid1(TRANS32_DEP_1)
	v_rcp_iflag_f32_e32 v3, v3
	v_nop
	v_mul_f32_e32 v3, 0x4f7ffffe, v3
	s_delay_alu instid0(VALU_DEP_1) | instskip(NEXT) | instid1(VALU_DEP_1)
	v_cvt_u32_f32_e32 v3, v3
	v_mul_lo_u32 v6, s1, v3
	s_delay_alu instid0(VALU_DEP_1) | instskip(NEXT) | instid1(VALU_DEP_1)
	v_mul_hi_u32 v6, v3, v6
	v_add_nc_u32_e32 v3, v3, v6
	s_delay_alu instid0(VALU_DEP_1) | instskip(NEXT) | instid1(VALU_DEP_1)
	v_mul_hi_u32 v3, v8, v3
	v_mul_lo_u32 v6, v3, s8
	s_delay_alu instid0(VALU_DEP_1) | instskip(NEXT) | instid1(VALU_DEP_1)
	v_sub_nc_u32_e32 v6, v8, v6
	v_subrev_nc_u32_e32 v10, s8, v6
	v_cmp_le_u32_e32 vcc_lo, s8, v6
	s_delay_alu instid0(VALU_DEP_2) | instskip(NEXT) | instid1(VALU_DEP_1)
	v_dual_cndmask_b32 v6, v6, v10 :: v_dual_add_nc_u32 v7, 1, v3
	v_cndmask_b32_e32 v3, v3, v7, vcc_lo
	s_delay_alu instid0(VALU_DEP_2) | instskip(NEXT) | instid1(VALU_DEP_2)
	v_cmp_le_u32_e32 vcc_lo, s8, v6
	v_add_nc_u32_e32 v7, 1, v3
	s_delay_alu instid0(VALU_DEP_1)
	v_dual_cndmask_b32 v6, v3, v7 :: v_dual_mov_b32 v7, 0
.LBB0_11:                               ;   in Loop: Header=BB0_3 Depth=1
	s_or_b32 exec_lo, exec_lo, s0
	s_delay_alu instid0(VALU_DEP_1) | instskip(SKIP_2) | instid1(VALU_DEP_2)
	v_mul_u64_e32 v[10:11], s[8:9], v[6:7]
	s_mov_b32 s0, exec_lo
	v_mov_b32_e32 v12, 0
	v_sub_nc_u64_e32 v[10:11], v[8:9], v[10:11]
                                        ; implicit-def: $vgpr8_vgpr9
	s_delay_alu instid0(VALU_DEP_1) | instskip(NEXT) | instid1(VALU_DEP_1)
	v_or_b32_e32 v13, s11, v11
	v_cmpx_ne_u64_e32 0, v[12:13]
	s_xor_b32 s1, exec_lo, s0
	s_cbranch_execz .LBB0_13
; %bb.12:                               ;   in Loop: Header=BB0_3 Depth=1
	s_cvt_f32_u32 s0, s10
	s_cvt_f32_u32 s2, s11
	s_sub_nc_u64 s[44:45], 0, s[10:11]
	s_mov_b32 s49, 0
	v_dual_mov_b32 v8, v10 :: v_dual_mov_b32 v9, v12
	s_fmamk_f32 s0, s2, 0x4f800000, s0
	v_dual_mov_b32 v14, v11 :: v_dual_mov_b32 v15, v12
	v_dual_mov_b32 v19, v12 :: v_dual_mov_b32 v13, v12
	s_delay_alu instid0(SALU_CYCLE_1) | instskip(NEXT) | instid1(TRANS32_DEP_1)
	v_s_rcp_f32 s0, s0
	s_mul_f32 s0, s0, 0x5f7ffffc
	s_delay_alu instid0(SALU_CYCLE_3) | instskip(NEXT) | instid1(SALU_CYCLE_3)
	s_mul_f32 s2, s0, 0x2f800000
	s_trunc_f32 s2, s2
	s_delay_alu instid0(SALU_CYCLE_3) | instskip(SKIP_1) | instid1(SALU_CYCLE_2)
	s_fmamk_f32 s0, s2, 0xcf800000, s0
	s_cvt_u32_f32 s35, s2
	s_cvt_u32_f32 s34, s0
	s_delay_alu instid0(SALU_CYCLE_3) | instskip(NEXT) | instid1(SALU_CYCLE_1)
	s_mul_u64 s[46:47], s[44:45], s[34:35]
	s_mul_hi_u32 s51, s34, s47
	s_mul_i32 s50, s34, s47
	s_mul_hi_u32 s48, s34, s46
	s_mul_i32 s2, s35, s46
	s_add_nc_u64 s[50:51], s[48:49], s[50:51]
	s_mul_hi_u32 s0, s35, s46
	s_mul_hi_u32 s33, s35, s47
	s_add_co_u32 s2, s50, s2
	s_add_co_ci_u32 s48, s51, s0
	s_mul_i32 s46, s35, s47
	s_add_co_ci_u32 s47, s33, 0
	s_delay_alu instid0(SALU_CYCLE_1) | instskip(NEXT) | instid1(SALU_CYCLE_1)
	s_add_nc_u64 s[46:47], s[48:49], s[46:47]
	s_add_co_u32 s34, s34, s46
	s_cselect_b32 s0, -1, 0
	s_delay_alu instid0(SALU_CYCLE_1) | instskip(SKIP_1) | instid1(SALU_CYCLE_1)
	s_cmp_lg_u32 s0, 0
	s_add_co_ci_u32 s35, s35, s47
	s_mul_u64 s[44:45], s[44:45], s[34:35]
	s_delay_alu instid0(SALU_CYCLE_1)
	s_mul_hi_u32 s47, s34, s45
	s_mul_i32 s46, s34, s45
	s_mul_hi_u32 s48, s34, s44
	s_mul_i32 s2, s35, s44
	s_add_nc_u64 s[46:47], s[48:49], s[46:47]
	s_mul_hi_u32 s0, s35, s44
	s_mul_hi_u32 s33, s35, s45
	s_add_co_u32 s2, s46, s2
	s_add_co_ci_u32 s48, s47, s0
	s_mul_i32 s44, s35, s45
	s_add_co_ci_u32 s45, s33, 0
	s_delay_alu instid0(SALU_CYCLE_1) | instskip(NEXT) | instid1(SALU_CYCLE_1)
	s_add_nc_u64 s[44:45], s[48:49], s[44:45]
	s_add_co_u32 s0, s34, s44
	s_cselect_b32 s2, -1, 0
	v_nop
	v_mul_hi_u32 v18, v10, s0
	s_cmp_lg_u32 s2, 0
	s_add_co_ci_u32 s48, s35, s45
	s_mov_b64 s[34:35], 0xffffffff
	v_mul_u64_e32 v[8:9], s[48:49], v[8:9]
	s_and_b64 s[34:35], s[0:1], s[34:35]
	s_delay_alu instid0(SALU_CYCLE_1) | instskip(SKIP_1) | instid1(VALU_DEP_3)
	v_mul_u64_e32 v[16:17], s[34:35], v[14:15]
	v_mul_u64_e32 v[14:15], s[48:49], v[14:15]
	v_add_nc_u64_e32 v[8:9], v[18:19], v[8:9]
	s_delay_alu instid0(VALU_DEP_1) | instskip(NEXT) | instid1(VALU_DEP_2)
	v_add_co_u32 v3, vcc_lo, v8, v16
	v_add_co_ci_u32_e32 v12, vcc_lo, v9, v17, vcc_lo
	s_delay_alu instid0(VALU_DEP_4) | instskip(NEXT) | instid1(VALU_DEP_1)
	v_add_co_ci_u32_e32 v15, vcc_lo, 0, v15, vcc_lo
	v_add_nc_u64_e32 v[8:9], v[12:13], v[14:15]
	s_delay_alu instid0(VALU_DEP_1) | instskip(SKIP_1) | instid1(VALU_DEP_2)
	v_mul_u64_e32 v[12:13], s[10:11], v[8:9]
	v_add_nc_u64_e32 v[14:15], 2, v[8:9]
	v_sub_nc_u32_e32 v3, v11, v13
	s_delay_alu instid0(VALU_DEP_3) | instskip(NEXT) | instid1(VALU_DEP_1)
	v_sub_co_u32 v12, vcc_lo, v10, v12
	v_sub_co_ci_u32_e64 v18, null, v11, v13, vcc_lo
	s_delay_alu instid0(VALU_DEP_3) | instskip(NEXT) | instid1(VALU_DEP_3)
	v_subrev_co_ci_u32_e64 v3, null, s11, v3, vcc_lo
	v_sub_co_u32 v16, s0, v12, s10
	v_cmp_le_u32_e32 vcc_lo, s10, v12
	s_delay_alu instid0(VALU_DEP_3) | instskip(NEXT) | instid1(VALU_DEP_3)
	v_subrev_co_ci_u32_e64 v3, null, 0, v3, s0
	v_cmp_le_u32_e64 s0, s10, v16
	v_add_nc_u64_e32 v[12:13], 1, v[8:9]
	v_cndmask_b32_e64 v19, 0, -1, vcc_lo
	s_delay_alu instid0(VALU_DEP_4) | instskip(NEXT) | instid1(VALU_DEP_4)
	v_cmp_eq_u32_e32 vcc_lo, s11, v3
	v_cndmask_b32_e64 v16, 0, -1, s0
	v_cmp_le_u32_e64 s0, s11, v3
	s_delay_alu instid0(VALU_DEP_1) | instskip(SKIP_1) | instid1(VALU_DEP_2)
	v_cndmask_b32_e64 v17, 0, -1, s0
	v_cmp_eq_u32_e64 s0, s11, v18
	v_cndmask_b32_e32 v3, v17, v16, vcc_lo
	v_cmp_le_u32_e32 vcc_lo, s11, v18
	v_cndmask_b32_e64 v16, 0, -1, vcc_lo
	s_delay_alu instid0(VALU_DEP_3) | instskip(SKIP_1) | instid1(VALU_DEP_3)
	v_cmp_ne_u32_e32 vcc_lo, 0, v3
	v_cndmask_b32_e32 v13, v13, v15, vcc_lo
	v_cndmask_b32_e64 v3, v16, v19, s0
	v_cndmask_b32_e32 v12, v12, v14, vcc_lo
	s_delay_alu instid0(VALU_DEP_2) | instskip(NEXT) | instid1(VALU_DEP_2)
	v_cmp_ne_u32_e32 vcc_lo, 0, v3
	v_dual_cndmask_b32 v9, v9, v13 :: v_dual_cndmask_b32 v8, v8, v12
.LBB0_13:                               ;   in Loop: Header=BB0_3 Depth=1
	s_and_not1_saveexec_b32 s0, s1
	s_cbranch_execz .LBB0_15
; %bb.14:                               ;   in Loop: Header=BB0_3 Depth=1
	v_cvt_f32_u32_e32 v3, s10
	s_sub_co_i32 s1, 0, s10
	s_delay_alu instid0(VALU_DEP_1) | instskip(SKIP_1) | instid1(TRANS32_DEP_1)
	v_rcp_iflag_f32_e32 v3, v3
	v_nop
	v_mul_f32_e32 v3, 0x4f7ffffe, v3
	s_delay_alu instid0(VALU_DEP_1) | instskip(NEXT) | instid1(VALU_DEP_1)
	v_cvt_u32_f32_e32 v3, v3
	v_mul_lo_u32 v8, s1, v3
	s_delay_alu instid0(VALU_DEP_1) | instskip(NEXT) | instid1(VALU_DEP_1)
	v_mul_hi_u32 v8, v3, v8
	v_add_nc_u32_e32 v3, v3, v8
	s_delay_alu instid0(VALU_DEP_1) | instskip(NEXT) | instid1(VALU_DEP_1)
	v_mul_hi_u32 v3, v10, v3
	v_mul_lo_u32 v8, v3, s10
	s_delay_alu instid0(VALU_DEP_1) | instskip(NEXT) | instid1(VALU_DEP_1)
	v_sub_nc_u32_e32 v8, v10, v8
	v_subrev_nc_u32_e32 v12, s10, v8
	v_cmp_le_u32_e32 vcc_lo, s10, v8
	s_delay_alu instid0(VALU_DEP_2) | instskip(NEXT) | instid1(VALU_DEP_1)
	v_dual_cndmask_b32 v8, v8, v12 :: v_dual_add_nc_u32 v9, 1, v3
	v_cndmask_b32_e32 v3, v3, v9, vcc_lo
	s_delay_alu instid0(VALU_DEP_2) | instskip(NEXT) | instid1(VALU_DEP_2)
	v_cmp_le_u32_e32 vcc_lo, s10, v8
	v_add_nc_u32_e32 v9, 1, v3
	s_delay_alu instid0(VALU_DEP_1)
	v_dual_cndmask_b32 v8, v3, v9 :: v_dual_mov_b32 v9, 0
.LBB0_15:                               ;   in Loop: Header=BB0_3 Depth=1
	s_or_b32 exec_lo, exec_lo, s0
	s_delay_alu instid0(VALU_DEP_1) | instskip(SKIP_1) | instid1(VALU_DEP_1)
	v_mul_u64_e32 v[12:13], s[10:11], v[8:9]
                                        ; implicit-def: $vgpr14_vgpr15
	s_mov_b32 s0, exec_lo
	v_sub_nc_u64_e32 v[10:11], v[10:11], v[12:13]
	s_delay_alu instid0(VALU_DEP_1) | instskip(NEXT) | instid1(VALU_DEP_1)
	v_dual_mov_b32 v12, 0 :: v_dual_bitop2_b32 v13, s13, v11 bitop3:0x54
	v_cmpx_ne_u64_e32 0, v[12:13]
	s_xor_b32 s1, exec_lo, s0
	s_cbranch_execz .LBB0_17
; %bb.16:                               ;   in Loop: Header=BB0_3 Depth=1
	s_cvt_f32_u32 s0, s12
	s_cvt_f32_u32 s2, s13
	s_sub_nc_u64 s[44:45], 0, s[12:13]
	s_mov_b32 s49, 0
	v_dual_mov_b32 v14, v10 :: v_dual_mov_b32 v15, v12
	s_fmamk_f32 s0, s2, 0x4f800000, s0
	v_dual_mov_b32 v16, v11 :: v_dual_mov_b32 v17, v12
	v_dual_mov_b32 v21, v12 :: v_dual_mov_b32 v13, v12
	s_delay_alu instid0(SALU_CYCLE_1) | instskip(NEXT) | instid1(TRANS32_DEP_1)
	v_s_rcp_f32 s0, s0
	s_mul_f32 s0, s0, 0x5f7ffffc
	s_delay_alu instid0(SALU_CYCLE_3) | instskip(NEXT) | instid1(SALU_CYCLE_3)
	s_mul_f32 s2, s0, 0x2f800000
	s_trunc_f32 s2, s2
	s_delay_alu instid0(SALU_CYCLE_3) | instskip(SKIP_1) | instid1(SALU_CYCLE_2)
	s_fmamk_f32 s0, s2, 0xcf800000, s0
	s_cvt_u32_f32 s35, s2
	s_cvt_u32_f32 s34, s0
	s_delay_alu instid0(SALU_CYCLE_3) | instskip(NEXT) | instid1(SALU_CYCLE_1)
	s_mul_u64 s[46:47], s[44:45], s[34:35]
	s_mul_hi_u32 s51, s34, s47
	s_mul_i32 s50, s34, s47
	s_mul_hi_u32 s48, s34, s46
	s_mul_i32 s2, s35, s46
	s_add_nc_u64 s[50:51], s[48:49], s[50:51]
	s_mul_hi_u32 s0, s35, s46
	s_mul_hi_u32 s33, s35, s47
	s_add_co_u32 s2, s50, s2
	s_add_co_ci_u32 s48, s51, s0
	s_mul_i32 s46, s35, s47
	s_add_co_ci_u32 s47, s33, 0
	s_delay_alu instid0(SALU_CYCLE_1) | instskip(NEXT) | instid1(SALU_CYCLE_1)
	s_add_nc_u64 s[46:47], s[48:49], s[46:47]
	s_add_co_u32 s34, s34, s46
	s_cselect_b32 s0, -1, 0
	s_delay_alu instid0(SALU_CYCLE_1) | instskip(SKIP_1) | instid1(SALU_CYCLE_1)
	s_cmp_lg_u32 s0, 0
	s_add_co_ci_u32 s35, s35, s47
	s_mul_u64 s[44:45], s[44:45], s[34:35]
	s_delay_alu instid0(SALU_CYCLE_1)
	s_mul_hi_u32 s47, s34, s45
	s_mul_i32 s46, s34, s45
	s_mul_hi_u32 s48, s34, s44
	s_mul_i32 s2, s35, s44
	s_add_nc_u64 s[46:47], s[48:49], s[46:47]
	s_mul_hi_u32 s0, s35, s44
	s_mul_hi_u32 s33, s35, s45
	s_add_co_u32 s2, s46, s2
	s_add_co_ci_u32 s48, s47, s0
	s_mul_i32 s44, s35, s45
	s_add_co_ci_u32 s45, s33, 0
	s_delay_alu instid0(SALU_CYCLE_1) | instskip(NEXT) | instid1(SALU_CYCLE_1)
	s_add_nc_u64 s[44:45], s[48:49], s[44:45]
	s_add_co_u32 s0, s34, s44
	s_cselect_b32 s2, -1, 0
	v_nop
	v_mul_hi_u32 v20, v10, s0
	s_cmp_lg_u32 s2, 0
	s_add_co_ci_u32 s48, s35, s45
	s_mov_b64 s[34:35], 0xffffffff
	v_mul_u64_e32 v[14:15], s[48:49], v[14:15]
	s_and_b64 s[34:35], s[0:1], s[34:35]
	s_delay_alu instid0(SALU_CYCLE_1) | instskip(SKIP_1) | instid1(VALU_DEP_3)
	v_mul_u64_e32 v[18:19], s[34:35], v[16:17]
	v_mul_u64_e32 v[16:17], s[48:49], v[16:17]
	v_add_nc_u64_e32 v[14:15], v[20:21], v[14:15]
	s_delay_alu instid0(VALU_DEP_1) | instskip(NEXT) | instid1(VALU_DEP_2)
	v_add_co_u32 v3, vcc_lo, v14, v18
	v_add_co_ci_u32_e32 v12, vcc_lo, v15, v19, vcc_lo
	s_delay_alu instid0(VALU_DEP_4) | instskip(NEXT) | instid1(VALU_DEP_1)
	v_add_co_ci_u32_e32 v17, vcc_lo, 0, v17, vcc_lo
	v_add_nc_u64_e32 v[12:13], v[12:13], v[16:17]
	s_delay_alu instid0(VALU_DEP_1) | instskip(SKIP_1) | instid1(VALU_DEP_2)
	v_mul_u64_e32 v[14:15], s[12:13], v[12:13]
	v_add_nc_u64_e32 v[16:17], 2, v[12:13]
	v_sub_nc_u32_e32 v3, v11, v15
	s_delay_alu instid0(VALU_DEP_3) | instskip(NEXT) | instid1(VALU_DEP_1)
	v_sub_co_u32 v14, vcc_lo, v10, v14
	v_sub_co_ci_u32_e64 v20, null, v11, v15, vcc_lo
	s_delay_alu instid0(VALU_DEP_3) | instskip(NEXT) | instid1(VALU_DEP_3)
	v_subrev_co_ci_u32_e64 v3, null, s13, v3, vcc_lo
	v_sub_co_u32 v18, s0, v14, s12
	v_cmp_le_u32_e32 vcc_lo, s12, v14
	s_delay_alu instid0(VALU_DEP_3) | instskip(NEXT) | instid1(VALU_DEP_3)
	v_subrev_co_ci_u32_e64 v3, null, 0, v3, s0
	v_cmp_le_u32_e64 s0, s12, v18
	v_add_nc_u64_e32 v[14:15], 1, v[12:13]
	v_cndmask_b32_e64 v21, 0, -1, vcc_lo
	s_delay_alu instid0(VALU_DEP_4) | instskip(NEXT) | instid1(VALU_DEP_4)
	v_cmp_eq_u32_e32 vcc_lo, s13, v3
	v_cndmask_b32_e64 v18, 0, -1, s0
	v_cmp_le_u32_e64 s0, s13, v3
	s_delay_alu instid0(VALU_DEP_1) | instskip(SKIP_1) | instid1(VALU_DEP_2)
	v_cndmask_b32_e64 v19, 0, -1, s0
	v_cmp_eq_u32_e64 s0, s13, v20
	v_cndmask_b32_e32 v3, v19, v18, vcc_lo
	v_cmp_le_u32_e32 vcc_lo, s13, v20
	v_cndmask_b32_e64 v18, 0, -1, vcc_lo
	s_delay_alu instid0(VALU_DEP_3) | instskip(SKIP_1) | instid1(VALU_DEP_3)
	v_cmp_ne_u32_e32 vcc_lo, 0, v3
	v_cndmask_b32_e32 v14, v14, v16, vcc_lo
	v_cndmask_b32_e64 v3, v18, v21, s0
	v_cndmask_b32_e32 v15, v15, v17, vcc_lo
	s_delay_alu instid0(VALU_DEP_2) | instskip(NEXT) | instid1(VALU_DEP_2)
	v_cmp_ne_u32_e32 vcc_lo, 0, v3
	v_dual_cndmask_b32 v15, v13, v15 :: v_dual_cndmask_b32 v14, v12, v14
.LBB0_17:                               ;   in Loop: Header=BB0_3 Depth=1
	s_and_not1_saveexec_b32 s0, s1
	s_cbranch_execz .LBB0_2
; %bb.18:                               ;   in Loop: Header=BB0_3 Depth=1
	v_cvt_f32_u32_e32 v3, s12
	s_sub_co_i32 s1, 0, s12
	v_mov_b32_e32 v15, 0
	s_delay_alu instid0(VALU_DEP_2) | instskip(SKIP_1) | instid1(TRANS32_DEP_1)
	v_rcp_iflag_f32_e32 v3, v3
	v_nop
	v_mul_f32_e32 v3, 0x4f7ffffe, v3
	s_delay_alu instid0(VALU_DEP_1) | instskip(NEXT) | instid1(VALU_DEP_1)
	v_cvt_u32_f32_e32 v3, v3
	v_mul_lo_u32 v12, s1, v3
	s_delay_alu instid0(VALU_DEP_1) | instskip(NEXT) | instid1(VALU_DEP_1)
	v_mul_hi_u32 v12, v3, v12
	v_add_nc_u32_e32 v3, v3, v12
	s_delay_alu instid0(VALU_DEP_1) | instskip(NEXT) | instid1(VALU_DEP_1)
	v_mul_hi_u32 v3, v10, v3
	v_mul_lo_u32 v12, v3, s12
	s_delay_alu instid0(VALU_DEP_1) | instskip(NEXT) | instid1(VALU_DEP_1)
	v_dual_add_nc_u32 v13, 1, v3 :: v_dual_sub_nc_u32 v12, v10, v12
	v_subrev_nc_u32_e32 v14, s12, v12
	v_cmp_le_u32_e32 vcc_lo, s12, v12
	s_delay_alu instid0(VALU_DEP_2) | instskip(NEXT) | instid1(VALU_DEP_1)
	v_dual_cndmask_b32 v12, v12, v14 :: v_dual_cndmask_b32 v3, v3, v13
	v_cmp_le_u32_e32 vcc_lo, s12, v12
	s_delay_alu instid0(VALU_DEP_2) | instskip(NEXT) | instid1(VALU_DEP_1)
	v_add_nc_u32_e32 v13, 1, v3
	v_cndmask_b32_e32 v14, v3, v13, vcc_lo
	s_branch .LBB0_2
	.section	.rodata,"a",@progbits
	.p2align	6, 0x0
	.amdhsa_kernel UniversalTranspose
		.amdhsa_group_segment_fixed_size 0
		.amdhsa_private_segment_fixed_size 0
		.amdhsa_kernarg_size 392
		.amdhsa_user_sgpr_count 2
		.amdhsa_user_sgpr_dispatch_ptr 0
		.amdhsa_user_sgpr_queue_ptr 0
		.amdhsa_user_sgpr_kernarg_segment_ptr 1
		.amdhsa_user_sgpr_dispatch_id 0
		.amdhsa_user_sgpr_kernarg_preload_length 0
		.amdhsa_user_sgpr_kernarg_preload_offset 0
		.amdhsa_user_sgpr_private_segment_size 0
		.amdhsa_wavefront_size32 1
		.amdhsa_uses_dynamic_stack 0
		.amdhsa_enable_private_segment 0
		.amdhsa_system_sgpr_workgroup_id_x 1
		.amdhsa_system_sgpr_workgroup_id_y 0
		.amdhsa_system_sgpr_workgroup_id_z 0
		.amdhsa_system_sgpr_workgroup_info 0
		.amdhsa_system_vgpr_workitem_id 0
		.amdhsa_next_free_vgpr 24
		.amdhsa_next_free_sgpr 52
		.amdhsa_named_barrier_count 0
		.amdhsa_reserve_vcc 1
		.amdhsa_float_round_mode_32 0
		.amdhsa_float_round_mode_16_64 0
		.amdhsa_float_denorm_mode_32 3
		.amdhsa_float_denorm_mode_16_64 3
		.amdhsa_fp16_overflow 0
		.amdhsa_memory_ordered 1
		.amdhsa_forward_progress 1
		.amdhsa_inst_pref_size 26
		.amdhsa_round_robin_scheduling 0
		.amdhsa_exception_fp_ieee_invalid_op 0
		.amdhsa_exception_fp_denorm_src 0
		.amdhsa_exception_fp_ieee_div_zero 0
		.amdhsa_exception_fp_ieee_overflow 0
		.amdhsa_exception_fp_ieee_underflow 0
		.amdhsa_exception_fp_ieee_inexact 0
		.amdhsa_exception_int_div_zero 0
	.end_amdhsa_kernel
	.text
.Lfunc_end0:
	.size	UniversalTranspose, .Lfunc_end0-UniversalTranspose
                                        ; -- End function
	.set UniversalTranspose.num_vgpr, 24
	.set UniversalTranspose.num_agpr, 0
	.set UniversalTranspose.numbered_sgpr, 52
	.set UniversalTranspose.num_named_barrier, 0
	.set UniversalTranspose.private_seg_size, 0
	.set UniversalTranspose.uses_vcc, 1
	.set UniversalTranspose.uses_flat_scratch, 0
	.set UniversalTranspose.has_dyn_sized_stack, 0
	.set UniversalTranspose.has_recursion, 0
	.set UniversalTranspose.has_indirect_call, 0
	.section	.AMDGPU.csdata,"",@progbits
; Kernel info:
; codeLenInByte = 3220
; TotalNumSgprs: 54
; NumVgprs: 24
; ScratchSize: 0
; MemoryBound: 0
; FloatMode: 240
; IeeeMode: 1
; LDSByteSize: 0 bytes/workgroup (compile time only)
; SGPRBlocks: 0
; VGPRBlocks: 1
; NumSGPRsForWavesPerEU: 54
; NumVGPRsForWavesPerEU: 24
; NamedBarCnt: 0
; Occupancy: 16
; WaveLimiterHint : 0
; COMPUTE_PGM_RSRC2:SCRATCH_EN: 0
; COMPUTE_PGM_RSRC2:USER_SGPR: 2
; COMPUTE_PGM_RSRC2:TRAP_HANDLER: 0
; COMPUTE_PGM_RSRC2:TGID_X_EN: 1
; COMPUTE_PGM_RSRC2:TGID_Y_EN: 0
; COMPUTE_PGM_RSRC2:TGID_Z_EN: 0
; COMPUTE_PGM_RSRC2:TIDIG_COMP_CNT: 0
	.text
	.protected	TiledTranspose          ; -- Begin function TiledTranspose
	.globl	TiledTranspose
	.p2align	8
	.type	TiledTranspose,@function
TiledTranspose:                         ; @TiledTranspose
; %bb.0:
	s_load_b512 s[4:19], s[0:1], 0x10
	s_bfe_u32 s23, ttmp6, 0x4000c
	s_and_b32 s22, ttmp6, 15
	s_add_co_i32 s23, s23, 1
	s_getreg_b32 s24, hwreg(HW_REG_IB_STS2, 6, 4)
	s_mov_b32 s29, 0
	s_wait_kmcnt 0x0
	s_add_nc_u64 s[2:3], s[6:7], 15
	s_add_nc_u64 s[20:21], s[12:13], 15
	s_lshr_b64 s[2:3], s[2:3], 4
	s_lshr_b64 s[30:31], s[20:21], 4
	s_delay_alu instid0(SALU_CYCLE_1)
	s_mul_u64 s[34:35], s[30:31], s[2:3]
	s_mul_i32 s2, ttmp9, s23
	s_mul_u64 s[44:45], s[34:35], s[10:11]
	s_add_co_i32 s22, s22, s2
	s_mul_u64 s[46:47], s[44:45], s[8:9]
	s_cmp_eq_u32 s24, 0
	s_mul_u64 s[4:5], s[46:47], s[4:5]
	s_cselect_b32 s28, ttmp9, s22
	s_delay_alu instid0(SALU_CYCLE_1)
	v_cmp_le_u64_e64 s2, s[4:5], s[28:29]
	s_and_b32 vcc_lo, exec_lo, s2
	s_cbranch_vccnz .LBB1_25
; %bb.1:
	s_cvt_f32_u32 s2, s46
	s_cvt_f32_u32 s3, s47
	s_clause 0x2
	s_load_b256 s[36:43], s[0:1], 0x70
	s_load_b128 s[8:11], s[0:1], 0x0
	s_load_b256 s[20:27], s[0:1], 0x50
	s_wait_kmcnt 0x0
	s_load_b32 s42, s[0:1], 0x88
	s_fmamk_f32 s3, s3, 0x4f800000, s2
	v_cvt_f32_u32_e32 v4, s46
	v_cvt_f32_u32_e32 v5, s44
	;; [unrolled: 1-line block ×3, first 2 shown]
	s_wait_xcnt 0x0
	v_s_rcp_f32 s0, s3
	v_cvt_f32_u32_e32 v7, s30
	v_cmp_gt_u32_e64 s2, 0x100, v0
	v_dual_mov_b32 v3, 0 :: v_dual_lshrrev_b32 v2, 4, v0
	v_and_b32_e32 v0, 15, v0
	v_rcp_iflag_f32_e32 v10, v4
	v_rcp_iflag_f32_e32 v11, v5
	s_delay_alu instid0(TRANS32_DEP_3)
	s_mul_f32 s0, s0, 0x5f7ffffc
	v_rcp_iflag_f32_e32 v6, v6
	v_rcp_iflag_f32_e32 v7, v7
	v_mov_b32_e32 v1, v3
	s_mul_f32 s1, s0, 0x2f800000
	v_dual_lshlrev_b32 v8, 2, v0 :: v_dual_lshlrev_b32 v9, 2, v2
	s_mov_b32 s43, s29
	s_delay_alu instid0(SALU_CYCLE_1) | instskip(SKIP_1) | instid1(VALU_DEP_1)
	s_trunc_f32 s1, s1
	s_sub_nc_u64 s[50:51], 0, s[46:47]
	v_mad_u32_u24 v4, 0x44, v2, v8
	v_mad_u32_u24 v5, 0x44, v0, v9
	v_dual_mul_f32 v8, 0x4f7ffffe, v10 :: v_dual_mul_f32 v9, 0x4f7ffffe, v11
	v_dual_mul_f32 v10, 0x4f7ffffe, v6 :: v_dual_mul_f32 v11, 0x4f7ffffe, v7
	s_fmamk_f32 s0, s1, 0xcf800000, s0
	s_delay_alu instid0(VALU_DEP_2) | instskip(NEXT) | instid1(VALU_DEP_3)
	v_cvt_u32_f32_e32 v6, v8
	v_cvt_u32_f32_e32 v7, v9
	s_delay_alu instid0(VALU_DEP_3)
	v_cvt_u32_f32_e32 v8, v10
	v_cvt_u32_f32_e32 v9, v11
	s_cvt_u32_f32 s48, s0
	s_cvt_u32_f32 s49, s1
	s_mov_b64 s[52:53], s[28:29]
	s_branch .LBB1_3
.LBB1_2:                                ;   in Loop: Header=BB1_3 Depth=1
	s_wait_xcnt 0x0
	s_or_b32 exec_lo, exec_lo, s1
	s_wait_kmcnt 0x0
	s_add_nc_u64 s[52:53], s[52:53], s[42:43]
	s_delay_alu instid0(SALU_CYCLE_1)
	v_cmp_ge_u64_e64 s0, s[52:53], s[4:5]
	s_and_b32 vcc_lo, exec_lo, s0
	s_cbranch_vccnz .LBB1_25
.LBB1_3:                                ; =>This Inner Loop Header: Depth=1
	s_or_b64 s[0:1], s[52:53], s[46:47]
                                        ; implicit-def: $sgpr54_sgpr55
	s_delay_alu instid0(SALU_CYCLE_1) | instskip(NEXT) | instid1(SALU_CYCLE_1)
	s_and_b64 s[0:1], s[0:1], 0xffffffff00000000
	s_cmp_lg_u64 s[0:1], 0
	s_mov_b32 s0, -1
	s_cbranch_scc0 .LBB1_5
; %bb.4:                                ;   in Loop: Header=BB1_3 Depth=1
	s_mul_u64 s[0:1], s[50:51], s[48:49]
	s_delay_alu instid0(SALU_CYCLE_1)
	s_mul_hi_u32 s55, s48, s1
	s_mul_i32 s54, s48, s1
	s_mul_hi_u32 s28, s48, s0
	s_mul_hi_u32 s3, s49, s0
	s_add_nc_u64 s[54:55], s[28:29], s[54:55]
	s_mul_i32 s0, s49, s0
	s_mul_hi_u32 s33, s49, s1
	s_add_co_u32 s0, s54, s0
	s_add_co_ci_u32 s28, s55, s3
	s_add_co_ci_u32 s55, s33, 0
	s_mul_i32 s54, s49, s1
	s_delay_alu instid0(SALU_CYCLE_1) | instskip(NEXT) | instid1(SALU_CYCLE_1)
	s_add_nc_u64 s[0:1], s[28:29], s[54:55]
	s_add_co_u32 s0, s48, s0
	s_cselect_b32 s3, -1, 0
	s_delay_alu instid0(SALU_CYCLE_1) | instskip(SKIP_1) | instid1(SALU_CYCLE_1)
	s_cmp_lg_u32 s3, 0
	s_add_co_ci_u32 s1, s49, s1
	s_mul_u64 s[54:55], s[50:51], s[0:1]
	s_delay_alu instid0(SALU_CYCLE_1)
	s_mul_hi_u32 s57, s0, s55
	s_mul_i32 s56, s0, s55
	s_mul_hi_u32 s28, s0, s54
	s_mul_i32 s33, s1, s54
	s_add_nc_u64 s[56:57], s[28:29], s[56:57]
	s_mul_hi_u32 s3, s1, s54
	s_mul_hi_u32 s58, s1, s55
	s_add_co_u32 s28, s56, s33
	s_add_co_ci_u32 s28, s57, s3
	s_mul_i32 s54, s1, s55
	s_add_co_ci_u32 s55, s58, 0
	s_delay_alu instid0(SALU_CYCLE_1) | instskip(NEXT) | instid1(SALU_CYCLE_1)
	s_add_nc_u64 s[54:55], s[28:29], s[54:55]
	s_add_co_u32 s0, s0, s54
	s_cselect_b32 s3, -1, 0
	s_mul_hi_u32 s28, s52, s0
	s_cmp_lg_u32 s3, 0
	s_mul_hi_u32 s3, s53, s0
	s_add_co_ci_u32 s33, s1, s55
	s_mul_i32 s55, s53, s0
	s_mul_hi_u32 s1, s52, s33
	s_mul_i32 s0, s52, s33
	s_mul_hi_u32 s56, s53, s33
	s_add_nc_u64 s[0:1], s[28:29], s[0:1]
	s_mul_i32 s54, s53, s33
	s_add_co_u32 s0, s0, s55
	s_add_co_ci_u32 s28, s1, s3
	s_add_co_ci_u32 s55, s56, 0
	s_delay_alu instid0(SALU_CYCLE_1) | instskip(NEXT) | instid1(SALU_CYCLE_1)
	s_add_nc_u64 s[0:1], s[28:29], s[54:55]
	s_and_b64 s[54:55], s[0:1], 0xffffffff00000000
	s_delay_alu instid0(SALU_CYCLE_1) | instskip(NEXT) | instid1(SALU_CYCLE_1)
	s_or_b32 s54, s54, s0
	s_mul_u64 s[0:1], s[46:47], s[54:55]
	s_delay_alu instid0(SALU_CYCLE_1)
	s_sub_co_u32 s0, s52, s0
	s_cselect_b32 s3, -1, 0
	s_sub_co_i32 s28, s53, s1
	s_cmp_lg_u32 s3, 0
	s_sub_co_ci_u32 s28, s28, s47
	s_sub_co_u32 s33, s0, s46
	s_cselect_b32 s56, -1, 0
	s_delay_alu instid0(SALU_CYCLE_1) | instskip(SKIP_2) | instid1(SALU_CYCLE_1)
	s_cmp_lg_u32 s56, 0
	s_add_nc_u64 s[56:57], s[54:55], 1
	s_sub_co_ci_u32 s28, s28, 0
	s_cmp_ge_u32 s28, s47
	s_cselect_b32 s58, -1, 0
	s_cmp_ge_u32 s33, s46
	s_cselect_b32 s33, -1, 0
	s_cmp_eq_u32 s28, s47
	s_cselect_b32 s28, s33, s58
	s_add_nc_u64 s[58:59], s[54:55], 2
	s_cmp_lg_u32 s28, 0
	s_cselect_b32 s28, s58, s56
	s_cselect_b32 s33, s59, s57
	s_cmp_lg_u32 s3, 0
	s_sub_co_ci_u32 s1, s53, s1
	s_delay_alu instid0(SALU_CYCLE_1)
	s_cmp_ge_u32 s1, s47
	s_cselect_b32 s3, -1, 0
	s_cmp_ge_u32 s0, s46
	s_cselect_b32 s0, -1, 0
	s_cmp_eq_u32 s1, s47
	s_cselect_b32 s0, s0, s3
	s_delay_alu instid0(SALU_CYCLE_1)
	s_cmp_lg_u32 s0, 0
	s_mov_b32 s0, 0
	s_cselect_b32 s55, s33, s55
	s_cselect_b32 s54, s28, s54
.LBB1_5:                                ;   in Loop: Header=BB1_3 Depth=1
	s_and_not1_b32 vcc_lo, exec_lo, s0
	s_cbranch_vccnz .LBB1_7
; %bb.6:                                ;   in Loop: Header=BB1_3 Depth=1
	v_readfirstlane_b32 s0, v6
	s_sub_co_i32 s1, 0, s46
	s_delay_alu instid0(SALU_CYCLE_1) | instskip(NEXT) | instid1(SALU_CYCLE_1)
	s_mul_i32 s1, s1, s0
	s_mul_hi_u32 s1, s0, s1
	s_delay_alu instid0(SALU_CYCLE_1) | instskip(NEXT) | instid1(SALU_CYCLE_1)
	s_add_co_i32 s0, s0, s1
	s_mul_hi_u32 s0, s52, s0
	s_delay_alu instid0(SALU_CYCLE_1) | instskip(SKIP_2) | instid1(SALU_CYCLE_1)
	s_mul_i32 s1, s0, s46
	s_add_co_i32 s3, s0, 1
	s_sub_co_i32 s1, s52, s1
	s_sub_co_i32 s28, s1, s46
	s_cmp_ge_u32 s1, s46
	s_cselect_b32 s0, s3, s0
	s_cselect_b32 s1, s28, s1
	s_add_co_i32 s3, s0, 1
	s_cmp_ge_u32 s1, s46
	s_cselect_b32 s28, s3, s0
	s_delay_alu instid0(SALU_CYCLE_1)
	s_mov_b64 s[54:55], s[28:29]
.LBB1_7:                                ;   in Loop: Header=BB1_3 Depth=1
	s_delay_alu instid0(SALU_CYCLE_1) | instskip(NEXT) | instid1(SALU_CYCLE_1)
	s_mul_u64 s[0:1], s[54:55], s[46:47]
	s_sub_nc_u64 s[0:1], s[52:53], s[0:1]
	s_delay_alu instid0(SALU_CYCLE_1) | instskip(NEXT) | instid1(SALU_CYCLE_1)
	s_or_b64 s[56:57], s[0:1], s[44:45]
	s_and_b64 s[56:57], s[56:57], 0xffffffff00000000
	s_delay_alu instid0(SALU_CYCLE_1)
	s_cmp_lg_u64 s[56:57], 0
	s_cbranch_scc0 .LBB1_22
; %bb.8:                                ;   in Loop: Header=BB1_3 Depth=1
	s_cvt_f32_u32 s3, s44
	s_cvt_f32_u32 s28, s45
	s_sub_nc_u64 s[58:59], 0, s[44:45]
	s_delay_alu instid0(SALU_CYCLE_2) | instskip(NEXT) | instid1(SALU_CYCLE_3)
	s_fmamk_f32 s3, s28, 0x4f800000, s3
	v_s_rcp_f32 s3, s3
	s_delay_alu instid0(TRANS32_DEP_1) | instskip(NEXT) | instid1(SALU_CYCLE_3)
	s_mul_f32 s3, s3, 0x5f7ffffc
	s_mul_f32 s28, s3, 0x2f800000
	s_delay_alu instid0(SALU_CYCLE_3) | instskip(NEXT) | instid1(SALU_CYCLE_3)
	s_trunc_f32 s28, s28
	s_fmamk_f32 s3, s28, 0xcf800000, s3
	s_cvt_u32_f32 s57, s28
	s_delay_alu instid0(SALU_CYCLE_2) | instskip(NEXT) | instid1(SALU_CYCLE_3)
	s_cvt_u32_f32 s56, s3
	s_mul_u64 s[60:61], s[58:59], s[56:57]
	s_delay_alu instid0(SALU_CYCLE_1)
	s_mul_hi_u32 s63, s56, s61
	s_mul_i32 s62, s56, s61
	s_mul_hi_u32 s28, s56, s60
	s_mul_i32 s33, s57, s60
	s_add_nc_u64 s[62:63], s[28:29], s[62:63]
	s_mul_hi_u32 s3, s57, s60
	s_mul_hi_u32 s64, s57, s61
	s_add_co_u32 s28, s62, s33
	s_add_co_ci_u32 s28, s63, s3
	s_mul_i32 s60, s57, s61
	s_add_co_ci_u32 s61, s64, 0
	s_delay_alu instid0(SALU_CYCLE_1) | instskip(NEXT) | instid1(SALU_CYCLE_1)
	s_add_nc_u64 s[60:61], s[28:29], s[60:61]
	s_add_co_u32 s56, s56, s60
	s_cselect_b32 s3, -1, 0
	s_delay_alu instid0(SALU_CYCLE_1) | instskip(SKIP_1) | instid1(SALU_CYCLE_1)
	s_cmp_lg_u32 s3, 0
	s_add_co_ci_u32 s57, s57, s61
	s_mul_u64 s[58:59], s[58:59], s[56:57]
	s_delay_alu instid0(SALU_CYCLE_1)
	s_mul_hi_u32 s61, s56, s59
	s_mul_i32 s60, s56, s59
	s_mul_hi_u32 s28, s56, s58
	s_mul_i32 s33, s57, s58
	s_add_nc_u64 s[60:61], s[28:29], s[60:61]
	s_mul_hi_u32 s3, s57, s58
	s_mul_hi_u32 s62, s57, s59
	s_add_co_u32 s28, s60, s33
	s_add_co_ci_u32 s28, s61, s3
	s_mul_i32 s58, s57, s59
	s_add_co_ci_u32 s59, s62, 0
	s_delay_alu instid0(SALU_CYCLE_1) | instskip(NEXT) | instid1(SALU_CYCLE_1)
	s_add_nc_u64 s[58:59], s[28:29], s[58:59]
	s_add_co_u32 s3, s56, s58
	s_cselect_b32 s33, -1, 0
	s_mul_hi_u32 s28, s0, s3
	s_cmp_lg_u32 s33, 0
	s_mul_hi_u32 s33, s1, s3
	s_add_co_ci_u32 s58, s57, s59
	s_mul_i32 s3, s1, s3
	s_mul_hi_u32 s57, s0, s58
	s_mul_i32 s56, s0, s58
	s_mul_hi_u32 s59, s1, s58
	s_add_nc_u64 s[56:57], s[28:29], s[56:57]
	s_mul_i32 s58, s1, s58
	s_add_co_u32 s3, s56, s3
	s_add_co_ci_u32 s28, s57, s33
	s_add_co_ci_u32 s59, s59, 0
	s_delay_alu instid0(SALU_CYCLE_1) | instskip(NEXT) | instid1(SALU_CYCLE_1)
	s_add_nc_u64 s[56:57], s[28:29], s[58:59]
	s_and_b64 s[58:59], s[56:57], 0xffffffff00000000
	s_delay_alu instid0(SALU_CYCLE_1) | instskip(NEXT) | instid1(SALU_CYCLE_1)
	s_or_b32 s58, s58, s56
	s_mul_u64 s[56:57], s[44:45], s[58:59]
	s_delay_alu instid0(SALU_CYCLE_1)
	s_sub_co_u32 s3, s0, s56
	s_cselect_b32 s28, -1, 0
	s_sub_co_i32 s33, s1, s57
	s_cmp_lg_u32 s28, 0
	s_sub_co_ci_u32 s33, s33, s45
	s_sub_co_u32 s56, s3, s44
	s_cselect_b32 s60, -1, 0
	s_delay_alu instid0(SALU_CYCLE_1) | instskip(SKIP_2) | instid1(SALU_CYCLE_1)
	s_cmp_lg_u32 s60, 0
	s_add_nc_u64 s[60:61], s[58:59], 1
	s_sub_co_ci_u32 s33, s33, 0
	s_cmp_ge_u32 s33, s45
	s_cselect_b32 s62, -1, 0
	s_cmp_ge_u32 s56, s44
	s_cselect_b32 s56, -1, 0
	s_cmp_eq_u32 s33, s45
	s_cselect_b32 s33, s56, s62
	s_add_nc_u64 s[62:63], s[58:59], 2
	s_cmp_lg_u32 s33, 0
	s_cselect_b32 s33, s62, s60
	s_cselect_b32 s56, s63, s61
	s_cmp_lg_u32 s28, 0
	s_sub_co_ci_u32 s28, s1, s57
	s_delay_alu instid0(SALU_CYCLE_1)
	s_cmp_ge_u32 s28, s45
	s_cselect_b32 s57, -1, 0
	s_cmp_ge_u32 s3, s44
	s_cselect_b32 s3, -1, 0
	s_cmp_eq_u32 s28, s45
	s_cselect_b32 s3, s3, s57
	s_delay_alu instid0(SALU_CYCLE_1)
	s_cmp_lg_u32 s3, 0
	s_cselect_b32 s57, s56, s59
	s_cselect_b32 s56, s33, s58
	s_cbranch_execnz .LBB1_10
.LBB1_9:                                ;   in Loop: Header=BB1_3 Depth=1
	v_nop
	v_readfirstlane_b32 s3, v7
	s_sub_co_i32 s28, 0, s44
	s_delay_alu instid0(SALU_CYCLE_1) | instskip(NEXT) | instid1(SALU_CYCLE_1)
	s_mul_i32 s28, s28, s3
	s_mul_hi_u32 s28, s3, s28
	s_delay_alu instid0(SALU_CYCLE_1) | instskip(NEXT) | instid1(SALU_CYCLE_1)
	s_add_co_i32 s3, s3, s28
	s_mul_hi_u32 s3, s0, s3
	s_delay_alu instid0(SALU_CYCLE_1) | instskip(SKIP_2) | instid1(SALU_CYCLE_1)
	s_mul_i32 s28, s3, s44
	s_add_co_i32 s33, s3, 1
	s_sub_co_i32 s28, s0, s28
	s_sub_co_i32 s56, s28, s44
	s_cmp_ge_u32 s28, s44
	s_cselect_b32 s3, s33, s3
	s_cselect_b32 s28, s56, s28
	s_add_co_i32 s33, s3, 1
	s_cmp_ge_u32 s28, s44
	s_cselect_b32 s28, s33, s3
	s_delay_alu instid0(SALU_CYCLE_1)
	s_mov_b64 s[56:57], s[28:29]
.LBB1_10:                               ;   in Loop: Header=BB1_3 Depth=1
	s_delay_alu instid0(SALU_CYCLE_1) | instskip(NEXT) | instid1(SALU_CYCLE_1)
	s_mul_u64 s[58:59], s[56:57], s[44:45]
	s_sub_nc_u64 s[0:1], s[0:1], s[58:59]
	s_delay_alu instid0(SALU_CYCLE_1) | instskip(NEXT) | instid1(SALU_CYCLE_1)
	s_or_b64 s[58:59], s[0:1], s[34:35]
	s_and_b64 s[58:59], s[58:59], 0xffffffff00000000
	s_delay_alu instid0(SALU_CYCLE_1)
	s_cmp_lg_u64 s[58:59], 0
	s_cbranch_scc0 .LBB1_23
; %bb.11:                               ;   in Loop: Header=BB1_3 Depth=1
	s_cvt_f32_u32 s3, s34
	s_cvt_f32_u32 s28, s35
	s_sub_nc_u64 s[60:61], 0, s[34:35]
	s_delay_alu instid0(SALU_CYCLE_2) | instskip(NEXT) | instid1(SALU_CYCLE_3)
	s_fmamk_f32 s3, s28, 0x4f800000, s3
	v_s_rcp_f32 s3, s3
	s_delay_alu instid0(TRANS32_DEP_1) | instskip(NEXT) | instid1(SALU_CYCLE_3)
	s_mul_f32 s3, s3, 0x5f7ffffc
	s_mul_f32 s28, s3, 0x2f800000
	s_delay_alu instid0(SALU_CYCLE_3) | instskip(NEXT) | instid1(SALU_CYCLE_3)
	s_trunc_f32 s28, s28
	s_fmamk_f32 s3, s28, 0xcf800000, s3
	s_cvt_u32_f32 s59, s28
	s_delay_alu instid0(SALU_CYCLE_2) | instskip(NEXT) | instid1(SALU_CYCLE_3)
	s_cvt_u32_f32 s58, s3
	s_mul_u64 s[62:63], s[60:61], s[58:59]
	s_delay_alu instid0(SALU_CYCLE_1)
	s_mul_hi_u32 s65, s58, s63
	s_mul_i32 s64, s58, s63
	s_mul_hi_u32 s28, s58, s62
	s_mul_i32 s33, s59, s62
	s_add_nc_u64 s[64:65], s[28:29], s[64:65]
	s_mul_hi_u32 s3, s59, s62
	s_mul_hi_u32 s66, s59, s63
	s_add_co_u32 s28, s64, s33
	s_add_co_ci_u32 s28, s65, s3
	s_mul_i32 s62, s59, s63
	s_add_co_ci_u32 s63, s66, 0
	s_delay_alu instid0(SALU_CYCLE_1) | instskip(NEXT) | instid1(SALU_CYCLE_1)
	s_add_nc_u64 s[62:63], s[28:29], s[62:63]
	s_add_co_u32 s58, s58, s62
	s_cselect_b32 s3, -1, 0
	s_delay_alu instid0(SALU_CYCLE_1) | instskip(SKIP_1) | instid1(SALU_CYCLE_1)
	s_cmp_lg_u32 s3, 0
	s_add_co_ci_u32 s59, s59, s63
	s_mul_u64 s[60:61], s[60:61], s[58:59]
	s_delay_alu instid0(SALU_CYCLE_1)
	s_mul_hi_u32 s63, s58, s61
	s_mul_i32 s62, s58, s61
	s_mul_hi_u32 s28, s58, s60
	s_mul_i32 s33, s59, s60
	s_add_nc_u64 s[62:63], s[28:29], s[62:63]
	s_mul_hi_u32 s3, s59, s60
	s_mul_hi_u32 s64, s59, s61
	s_add_co_u32 s28, s62, s33
	s_add_co_ci_u32 s28, s63, s3
	s_mul_i32 s60, s59, s61
	s_add_co_ci_u32 s61, s64, 0
	s_delay_alu instid0(SALU_CYCLE_1) | instskip(NEXT) | instid1(SALU_CYCLE_1)
	s_add_nc_u64 s[60:61], s[28:29], s[60:61]
	s_add_co_u32 s3, s58, s60
	s_cselect_b32 s33, -1, 0
	s_mul_hi_u32 s28, s0, s3
	s_cmp_lg_u32 s33, 0
	s_mul_hi_u32 s33, s1, s3
	s_add_co_ci_u32 s60, s59, s61
	s_mul_i32 s3, s1, s3
	s_mul_hi_u32 s59, s0, s60
	s_mul_i32 s58, s0, s60
	s_mul_hi_u32 s61, s1, s60
	s_add_nc_u64 s[58:59], s[28:29], s[58:59]
	s_mul_i32 s60, s1, s60
	s_add_co_u32 s3, s58, s3
	s_add_co_ci_u32 s28, s59, s33
	s_add_co_ci_u32 s61, s61, 0
	s_delay_alu instid0(SALU_CYCLE_1) | instskip(NEXT) | instid1(SALU_CYCLE_1)
	s_add_nc_u64 s[58:59], s[28:29], s[60:61]
	s_and_b64 s[60:61], s[58:59], 0xffffffff00000000
	s_delay_alu instid0(SALU_CYCLE_1) | instskip(NEXT) | instid1(SALU_CYCLE_1)
	s_or_b32 s60, s60, s58
	s_mul_u64 s[58:59], s[34:35], s[60:61]
	s_delay_alu instid0(SALU_CYCLE_1)
	s_sub_co_u32 s3, s0, s58
	s_cselect_b32 s28, -1, 0
	s_sub_co_i32 s33, s1, s59
	s_cmp_lg_u32 s28, 0
	s_sub_co_ci_u32 s33, s33, s35
	s_sub_co_u32 s58, s3, s34
	s_cselect_b32 s62, -1, 0
	s_delay_alu instid0(SALU_CYCLE_1) | instskip(SKIP_2) | instid1(SALU_CYCLE_1)
	s_cmp_lg_u32 s62, 0
	s_add_nc_u64 s[62:63], s[60:61], 1
	s_sub_co_ci_u32 s33, s33, 0
	s_cmp_ge_u32 s33, s35
	s_cselect_b32 s64, -1, 0
	s_cmp_ge_u32 s58, s34
	s_cselect_b32 s58, -1, 0
	s_cmp_eq_u32 s33, s35
	s_cselect_b32 s33, s58, s64
	s_add_nc_u64 s[64:65], s[60:61], 2
	s_cmp_lg_u32 s33, 0
	s_cselect_b32 s33, s64, s62
	s_cselect_b32 s58, s65, s63
	s_cmp_lg_u32 s28, 0
	s_sub_co_ci_u32 s28, s1, s59
	s_delay_alu instid0(SALU_CYCLE_1)
	s_cmp_ge_u32 s28, s35
	s_cselect_b32 s59, -1, 0
	s_cmp_ge_u32 s3, s34
	s_cselect_b32 s3, -1, 0
	s_cmp_eq_u32 s28, s35
	s_cselect_b32 s3, s3, s59
	s_delay_alu instid0(SALU_CYCLE_1)
	s_cmp_lg_u32 s3, 0
	s_cselect_b32 s59, s58, s61
	s_cselect_b32 s58, s33, s60
	s_cbranch_execnz .LBB1_13
.LBB1_12:                               ;   in Loop: Header=BB1_3 Depth=1
	v_nop
	v_readfirstlane_b32 s3, v8
	s_sub_co_i32 s28, 0, s34
	s_delay_alu instid0(SALU_CYCLE_1) | instskip(NEXT) | instid1(SALU_CYCLE_1)
	s_mul_i32 s28, s28, s3
	s_mul_hi_u32 s28, s3, s28
	s_delay_alu instid0(SALU_CYCLE_1) | instskip(NEXT) | instid1(SALU_CYCLE_1)
	s_add_co_i32 s3, s3, s28
	s_mul_hi_u32 s3, s0, s3
	s_delay_alu instid0(SALU_CYCLE_1) | instskip(SKIP_2) | instid1(SALU_CYCLE_1)
	s_mul_i32 s28, s3, s34
	s_add_co_i32 s33, s3, 1
	s_sub_co_i32 s28, s0, s28
	s_sub_co_i32 s58, s28, s34
	s_cmp_ge_u32 s28, s34
	s_cselect_b32 s3, s33, s3
	s_cselect_b32 s28, s58, s28
	s_add_co_i32 s33, s3, 1
	s_cmp_ge_u32 s28, s34
	s_cselect_b32 s28, s33, s3
	s_delay_alu instid0(SALU_CYCLE_1)
	s_mov_b64 s[58:59], s[28:29]
.LBB1_13:                               ;   in Loop: Header=BB1_3 Depth=1
	s_delay_alu instid0(SALU_CYCLE_1) | instskip(NEXT) | instid1(SALU_CYCLE_1)
	s_mul_u64 s[60:61], s[58:59], s[34:35]
	s_sub_nc_u64 s[0:1], s[0:1], s[60:61]
	s_delay_alu instid0(SALU_CYCLE_1) | instskip(NEXT) | instid1(SALU_CYCLE_1)
	s_or_b64 s[60:61], s[0:1], s[30:31]
	s_and_b64 s[60:61], s[60:61], 0xffffffff00000000
	s_delay_alu instid0(SALU_CYCLE_1)
	s_cmp_lg_u64 s[60:61], 0
	s_cbranch_scc0 .LBB1_24
; %bb.14:                               ;   in Loop: Header=BB1_3 Depth=1
	s_cvt_f32_u32 s3, s30
	s_cvt_f32_u32 s28, s31
	s_sub_nc_u64 s[62:63], 0, s[30:31]
	s_delay_alu instid0(SALU_CYCLE_2) | instskip(NEXT) | instid1(SALU_CYCLE_3)
	s_fmamk_f32 s3, s28, 0x4f800000, s3
	v_s_rcp_f32 s3, s3
	s_delay_alu instid0(TRANS32_DEP_1) | instskip(NEXT) | instid1(SALU_CYCLE_3)
	s_mul_f32 s3, s3, 0x5f7ffffc
	s_mul_f32 s28, s3, 0x2f800000
	s_delay_alu instid0(SALU_CYCLE_3) | instskip(NEXT) | instid1(SALU_CYCLE_3)
	s_trunc_f32 s28, s28
	s_fmamk_f32 s3, s28, 0xcf800000, s3
	s_cvt_u32_f32 s61, s28
	s_delay_alu instid0(SALU_CYCLE_2) | instskip(NEXT) | instid1(SALU_CYCLE_3)
	s_cvt_u32_f32 s60, s3
	s_mul_u64 s[64:65], s[62:63], s[60:61]
	s_delay_alu instid0(SALU_CYCLE_1)
	s_mul_hi_u32 s67, s60, s65
	s_mul_i32 s66, s60, s65
	s_mul_hi_u32 s28, s60, s64
	s_mul_i32 s33, s61, s64
	s_add_nc_u64 s[66:67], s[28:29], s[66:67]
	s_mul_hi_u32 s3, s61, s64
	s_mul_hi_u32 s68, s61, s65
	s_add_co_u32 s28, s66, s33
	s_add_co_ci_u32 s28, s67, s3
	s_mul_i32 s64, s61, s65
	s_add_co_ci_u32 s65, s68, 0
	s_delay_alu instid0(SALU_CYCLE_1) | instskip(NEXT) | instid1(SALU_CYCLE_1)
	s_add_nc_u64 s[64:65], s[28:29], s[64:65]
	s_add_co_u32 s60, s60, s64
	s_cselect_b32 s3, -1, 0
	s_delay_alu instid0(SALU_CYCLE_1) | instskip(SKIP_1) | instid1(SALU_CYCLE_1)
	s_cmp_lg_u32 s3, 0
	s_add_co_ci_u32 s61, s61, s65
	s_mul_u64 s[62:63], s[62:63], s[60:61]
	s_delay_alu instid0(SALU_CYCLE_1)
	s_mul_hi_u32 s65, s60, s63
	s_mul_i32 s64, s60, s63
	s_mul_hi_u32 s28, s60, s62
	s_mul_i32 s33, s61, s62
	s_add_nc_u64 s[64:65], s[28:29], s[64:65]
	s_mul_hi_u32 s3, s61, s62
	s_mul_hi_u32 s66, s61, s63
	s_add_co_u32 s28, s64, s33
	s_add_co_ci_u32 s28, s65, s3
	s_mul_i32 s62, s61, s63
	s_add_co_ci_u32 s63, s66, 0
	s_delay_alu instid0(SALU_CYCLE_1) | instskip(NEXT) | instid1(SALU_CYCLE_1)
	s_add_nc_u64 s[62:63], s[28:29], s[62:63]
	s_add_co_u32 s3, s60, s62
	s_cselect_b32 s33, -1, 0
	s_mul_hi_u32 s28, s0, s3
	s_cmp_lg_u32 s33, 0
	s_mul_hi_u32 s33, s1, s3
	s_add_co_ci_u32 s62, s61, s63
	s_mul_i32 s3, s1, s3
	s_mul_hi_u32 s61, s0, s62
	s_mul_i32 s60, s0, s62
	s_mul_hi_u32 s63, s1, s62
	s_add_nc_u64 s[60:61], s[28:29], s[60:61]
	s_mul_i32 s62, s1, s62
	s_add_co_u32 s3, s60, s3
	s_add_co_ci_u32 s28, s61, s33
	s_add_co_ci_u32 s63, s63, 0
	s_delay_alu instid0(SALU_CYCLE_1) | instskip(NEXT) | instid1(SALU_CYCLE_1)
	s_add_nc_u64 s[60:61], s[28:29], s[62:63]
	s_and_b64 s[62:63], s[60:61], 0xffffffff00000000
	s_delay_alu instid0(SALU_CYCLE_1) | instskip(NEXT) | instid1(SALU_CYCLE_1)
	s_or_b32 s62, s62, s60
	s_mul_u64 s[60:61], s[30:31], s[62:63]
	s_delay_alu instid0(SALU_CYCLE_1)
	s_sub_co_u32 s3, s0, s60
	s_cselect_b32 s28, -1, 0
	s_sub_co_i32 s33, s1, s61
	s_cmp_lg_u32 s28, 0
	s_sub_co_ci_u32 s33, s33, s31
	s_sub_co_u32 s60, s3, s30
	s_cselect_b32 s64, -1, 0
	s_delay_alu instid0(SALU_CYCLE_1) | instskip(SKIP_2) | instid1(SALU_CYCLE_1)
	s_cmp_lg_u32 s64, 0
	s_add_nc_u64 s[64:65], s[62:63], 1
	s_sub_co_ci_u32 s33, s33, 0
	s_cmp_ge_u32 s33, s31
	s_cselect_b32 s66, -1, 0
	s_cmp_ge_u32 s60, s30
	s_cselect_b32 s60, -1, 0
	s_cmp_eq_u32 s33, s31
	s_cselect_b32 s33, s60, s66
	s_add_nc_u64 s[66:67], s[62:63], 2
	s_cmp_lg_u32 s33, 0
	s_cselect_b32 s33, s66, s64
	s_cselect_b32 s60, s67, s65
	s_cmp_lg_u32 s28, 0
	s_sub_co_ci_u32 s28, s1, s61
	s_delay_alu instid0(SALU_CYCLE_1)
	s_cmp_ge_u32 s28, s31
	s_cselect_b32 s61, -1, 0
	s_cmp_ge_u32 s3, s30
	s_cselect_b32 s3, -1, 0
	s_cmp_eq_u32 s28, s31
	s_cselect_b32 s3, s3, s61
	s_delay_alu instid0(SALU_CYCLE_1)
	s_cmp_lg_u32 s3, 0
	s_cselect_b32 s61, s60, s63
	s_cselect_b32 s60, s33, s62
	s_cbranch_execnz .LBB1_16
.LBB1_15:                               ;   in Loop: Header=BB1_3 Depth=1
	v_nop
	v_readfirstlane_b32 s3, v9
	s_sub_co_i32 s28, 0, s30
	s_delay_alu instid0(SALU_CYCLE_1) | instskip(NEXT) | instid1(SALU_CYCLE_1)
	s_mul_i32 s28, s28, s3
	s_mul_hi_u32 s28, s3, s28
	s_delay_alu instid0(SALU_CYCLE_1) | instskip(NEXT) | instid1(SALU_CYCLE_1)
	s_add_co_i32 s3, s3, s28
	s_mul_hi_u32 s3, s0, s3
	s_delay_alu instid0(SALU_CYCLE_1) | instskip(SKIP_2) | instid1(SALU_CYCLE_1)
	s_mul_i32 s28, s3, s30
	s_add_co_i32 s33, s3, 1
	s_sub_co_i32 s28, s0, s28
	s_sub_co_i32 s60, s28, s30
	s_cmp_ge_u32 s28, s30
	s_cselect_b32 s3, s33, s3
	s_cselect_b32 s28, s60, s28
	s_add_co_i32 s33, s3, 1
	s_cmp_ge_u32 s28, s30
	s_cselect_b32 s28, s33, s3
	s_delay_alu instid0(SALU_CYCLE_1)
	s_mov_b64 s[60:61], s[28:29]
.LBB1_16:                               ;   in Loop: Header=BB1_3 Depth=1
	s_delay_alu instid0(SALU_CYCLE_1)
	s_mul_u64 s[62:63], s[60:61], s[30:31]
	s_lshl_b64 s[60:61], s[60:61], 4
	s_sub_nc_u64 s[0:1], s[0:1], s[62:63]
	s_add_nc_u64 s[64:65], s[60:61], 16
	s_lshl_b64 s[62:63], s[0:1], 4
	v_cmp_gt_u64_e64 s3, s[64:65], s[6:7]
	s_add_nc_u64 s[0:1], s[62:63], 16
	s_sub_nc_u64 s[66:67], s[12:13], s[62:63]
	v_cmp_gt_u64_e64 s28, s[0:1], s[12:13]
	s_sub_nc_u64 s[0:1], s[6:7], s[60:61]
	s_and_b32 s3, s3, exec_lo
	s_cselect_b32 s65, s1, 0
	s_cselect_b32 s64, s0, 16
	s_and_b32 s0, s28, exec_lo
	s_cselect_b32 s67, s67, 0
	s_cselect_b32 s66, s66, 16
	s_and_saveexec_b32 s1, s2
	s_cbranch_execz .LBB1_19
; %bb.17:                               ;   in Loop: Header=BB1_3 Depth=1
	v_cmp_gt_u64_e32 vcc_lo, s[64:65], v[2:3]
	v_cmp_gt_u64_e64 s0, s[66:67], v[0:1]
	s_and_b32 s0, vcc_lo, s0
	s_delay_alu instid0(SALU_CYCLE_1)
	s_and_b32 exec_lo, exec_lo, s0
	s_cbranch_execz .LBB1_19
; %bb.18:                               ;   in Loop: Header=BB1_3 Depth=1
	v_dual_mov_b32 v11, s61 :: v_dual_bitop2_b32 v10, s60, v2 bitop3:0x54
	v_dual_mov_b32 v13, s63 :: v_dual_bitop2_b32 v12, s62, v0 bitop3:0x54
	s_mul_u64 s[68:69], s[54:55], s[14:15]
	s_mul_u64 s[70:71], s[56:57], s[18:19]
	s_delay_alu instid0(VALU_DEP_2)
	v_mul_u64_e32 v[10:11], s[16:17], v[10:11]
	s_lshl_b64 s[68:69], s[68:69], 2
	v_mul_u64_e32 v[12:13], s[22:23], v[12:13]
	s_add_nc_u64 s[68:69], s[8:9], s[68:69]
	s_lshl_b64 s[70:71], s[70:71], 2
	s_mul_u64 s[72:73], s[58:59], s[20:21]
	s_add_nc_u64 s[68:69], s[68:69], s[70:71]
	s_lshl_b64 s[70:71], s[72:73], 2
	s_delay_alu instid0(SALU_CYCLE_1)
	s_add_nc_u64 s[68:69], s[68:69], s[70:71]
	s_delay_alu instid0(VALU_DEP_2) | instid1(SALU_CYCLE_1)
	v_lshl_add_u64 v[10:11], v[10:11], 2, s[68:69]
	s_delay_alu instid0(VALU_DEP_1)
	v_lshl_add_u64 v[10:11], v[12:13], 2, v[10:11]
	global_load_b32 v10, v[10:11], off
	s_wait_loadcnt 0x0
	ds_store_b32 v4, v10
.LBB1_19:                               ;   in Loop: Header=BB1_3 Depth=1
	s_or_b32 exec_lo, exec_lo, s1
	s_wait_dscnt 0x0
	s_barrier_signal -1
	s_barrier_wait -1
	s_and_saveexec_b32 s1, s2
	s_cbranch_execz .LBB1_2
; %bb.20:                               ;   in Loop: Header=BB1_3 Depth=1
	v_cmp_gt_u64_e32 vcc_lo, s[64:65], v[0:1]
	v_cmp_gt_u64_e64 s0, s[66:67], v[2:3]
	s_and_b32 s0, vcc_lo, s0
	s_delay_alu instid0(SALU_CYCLE_1)
	s_and_b32 exec_lo, exec_lo, s0
	s_cbranch_execz .LBB1_2
; %bb.21:                               ;   in Loop: Header=BB1_3 Depth=1
	v_dual_mov_b32 v11, s61 :: v_dual_bitop2_b32 v10, s60, v0 bitop3:0x54
	v_dual_mov_b32 v13, s63 :: v_dual_bitop2_b32 v12, s62, v2 bitop3:0x54
	s_mul_u64 s[54:55], s[54:55], s[24:25]
	ds_load_b32 v14, v5
	v_mul_u64_e32 v[10:11], s[26:27], v[10:11]
	s_mul_u64 s[56:57], s[56:57], s[36:37]
	v_mul_u64_e32 v[12:13], s[40:41], v[12:13]
	s_lshl_b64 s[54:55], s[54:55], 2
	s_mul_u64 s[58:59], s[58:59], s[38:39]
	s_lshl_b64 s[56:57], s[56:57], 2
	s_add_nc_u64 s[54:55], s[10:11], s[54:55]
	s_lshl_b64 s[58:59], s[58:59], 2
	s_add_nc_u64 s[54:55], s[54:55], s[56:57]
	s_delay_alu instid0(SALU_CYCLE_1)
	s_add_nc_u64 s[54:55], s[54:55], s[58:59]
	s_delay_alu instid0(VALU_DEP_2) | instid1(SALU_CYCLE_1)
	v_lshl_add_u64 v[10:11], v[10:11], 2, s[54:55]
	s_delay_alu instid0(VALU_DEP_1)
	v_lshl_add_u64 v[10:11], v[12:13], 2, v[10:11]
	s_wait_dscnt 0x0
	global_store_b32 v[10:11], v14, off
	s_wait_storecnt 0x0
	s_barrier_signal -1
	s_barrier_wait -1
	s_branch .LBB1_2
.LBB1_22:                               ;   in Loop: Header=BB1_3 Depth=1
                                        ; implicit-def: $sgpr56_sgpr57
	s_branch .LBB1_9
.LBB1_23:                               ;   in Loop: Header=BB1_3 Depth=1
                                        ; implicit-def: $sgpr58_sgpr59
	s_branch .LBB1_12
.LBB1_24:                               ;   in Loop: Header=BB1_3 Depth=1
                                        ; implicit-def: $sgpr60_sgpr61
	s_branch .LBB1_15
.LBB1_25:
	s_endpgm
	.section	.rodata,"a",@progbits
	.p2align	6, 0x0
	.amdhsa_kernel TiledTranspose
		.amdhsa_group_segment_fixed_size 1088
		.amdhsa_private_segment_fixed_size 0
		.amdhsa_kernarg_size 392
		.amdhsa_user_sgpr_count 2
		.amdhsa_user_sgpr_dispatch_ptr 0
		.amdhsa_user_sgpr_queue_ptr 0
		.amdhsa_user_sgpr_kernarg_segment_ptr 1
		.amdhsa_user_sgpr_dispatch_id 0
		.amdhsa_user_sgpr_kernarg_preload_length 0
		.amdhsa_user_sgpr_kernarg_preload_offset 0
		.amdhsa_user_sgpr_private_segment_size 0
		.amdhsa_wavefront_size32 1
		.amdhsa_uses_dynamic_stack 0
		.amdhsa_enable_private_segment 0
		.amdhsa_system_sgpr_workgroup_id_x 1
		.amdhsa_system_sgpr_workgroup_id_y 0
		.amdhsa_system_sgpr_workgroup_id_z 0
		.amdhsa_system_sgpr_workgroup_info 0
		.amdhsa_system_vgpr_workitem_id 0
		.amdhsa_next_free_vgpr 15
		.amdhsa_next_free_sgpr 74
		.amdhsa_named_barrier_count 0
		.amdhsa_reserve_vcc 1
		.amdhsa_float_round_mode_32 0
		.amdhsa_float_round_mode_16_64 0
		.amdhsa_float_denorm_mode_32 3
		.amdhsa_float_denorm_mode_16_64 3
		.amdhsa_fp16_overflow 0
		.amdhsa_memory_ordered 1
		.amdhsa_forward_progress 1
		.amdhsa_inst_pref_size 25
		.amdhsa_round_robin_scheduling 0
		.amdhsa_exception_fp_ieee_invalid_op 0
		.amdhsa_exception_fp_denorm_src 0
		.amdhsa_exception_fp_ieee_div_zero 0
		.amdhsa_exception_fp_ieee_overflow 0
		.amdhsa_exception_fp_ieee_underflow 0
		.amdhsa_exception_fp_ieee_inexact 0
		.amdhsa_exception_int_div_zero 0
	.end_amdhsa_kernel
	.text
.Lfunc_end1:
	.size	TiledTranspose, .Lfunc_end1-TiledTranspose
                                        ; -- End function
	.set TiledTranspose.num_vgpr, 15
	.set TiledTranspose.num_agpr, 0
	.set TiledTranspose.numbered_sgpr, 74
	.set TiledTranspose.num_named_barrier, 0
	.set TiledTranspose.private_seg_size, 0
	.set TiledTranspose.uses_vcc, 1
	.set TiledTranspose.uses_flat_scratch, 0
	.set TiledTranspose.has_dyn_sized_stack, 0
	.set TiledTranspose.has_recursion, 0
	.set TiledTranspose.has_indirect_call, 0
	.section	.AMDGPU.csdata,"",@progbits
; Kernel info:
; codeLenInByte = 3120
; TotalNumSgprs: 76
; NumVgprs: 15
; ScratchSize: 0
; MemoryBound: 0
; FloatMode: 240
; IeeeMode: 1
; LDSByteSize: 1088 bytes/workgroup (compile time only)
; SGPRBlocks: 0
; VGPRBlocks: 0
; NumSGPRsForWavesPerEU: 76
; NumVGPRsForWavesPerEU: 15
; NamedBarCnt: 0
; Occupancy: 16
; WaveLimiterHint : 0
; COMPUTE_PGM_RSRC2:SCRATCH_EN: 0
; COMPUTE_PGM_RSRC2:USER_SGPR: 2
; COMPUTE_PGM_RSRC2:TRAP_HANDLER: 0
; COMPUTE_PGM_RSRC2:TGID_X_EN: 1
; COMPUTE_PGM_RSRC2:TGID_Y_EN: 0
; COMPUTE_PGM_RSRC2:TGID_Z_EN: 0
; COMPUTE_PGM_RSRC2:TIDIG_COMP_CNT: 0
	.text
	.protected	VectorizedTranspose     ; -- Begin function VectorizedTranspose
	.globl	VectorizedTranspose
	.p2align	8
	.type	VectorizedTranspose,@function
VectorizedTranspose:                    ; @VectorizedTranspose
; %bb.0:
	s_clause 0x6
	s_load_b32 s3, s[0:1], 0x88
	s_load_b32 s35, s[0:1], 0x9c
	s_load_b128 s[28:31], s[0:1], 0x70
	s_load_b32 s2, s[0:1], 0x90
	s_load_b128 s[36:39], s[0:1], 0x0
	s_load_b512 s[4:19], s[0:1], 0x10
	s_load_b256 s[20:27], s[0:1], 0x50
	s_getreg_b32 s41, hwreg(HW_REG_IB_STS2, 6, 4)
	v_mov_b32_e32 v1, 0
	s_wait_kmcnt 0x0
	s_bitcmp1_b32 s3, 0
	s_cselect_b32 s34, -1, 0
	s_bitcmp1_b32 s3, 8
	s_cselect_b32 s33, -1, 0
	s_bfe_u32 s3, ttmp6, 0x4000c
	s_and_b32 s42, ttmp6, 15
	s_add_co_i32 s3, s3, 1
	s_and_b32 s40, s35, 0xffff
	s_mul_i32 s3, ttmp9, s3
	s_mov_b32 s35, -1
	s_add_co_i32 s42, s42, s3
	s_cmp_eq_u32 s41, 0
	s_cselect_b32 s3, ttmp9, s42
	s_and_b32 s42, s34, s33
	v_mad_nc_u64_u32 v[0:1], s40, s3, v[0:1]
	s_mov_b32 s3, 0
	s_and_not1_b32 vcc_lo, exec_lo, s42
	s_mov_b32 s41, s3
	s_delay_alu instid0(SALU_CYCLE_1)
	s_mul_u64 s[2:3], s[40:41], s[2:3]
	s_cbranch_vccz .LBB2_13
; %bb.1:
	s_load_b128 s[40:43], s[0:1], 0x80
	s_wait_xcnt 0x0
	s_xor_b32 s0, s34, -1
	s_delay_alu instid0(SALU_CYCLE_1)
	s_and_b32 vcc_lo, exec_lo, s0
	s_mov_b32 s0, -1
	s_cbranch_vccz .LBB2_9
; %bb.2:
	s_xor_b32 s0, s33, -1
	s_delay_alu instid0(SALU_CYCLE_1)
	s_and_not1_b32 vcc_lo, exec_lo, s0
	s_mov_b32 s0, -1
	s_cbranch_vccnz .LBB2_5
; %bb.3:
	s_mul_u64 s[34:35], s[12:13], s[10:11]
	v_mov_b64_e32 v[2:3], v[0:1]
	s_wait_kmcnt 0x0
	s_mul_u64 s[42:43], s[34:35], s[8:9]
	s_mov_b32 s33, 0
	s_mul_u64 s[44:45], s[42:43], s[6:7]
	s_mov_b32 s1, exec_lo
	s_mul_u64 s[46:47], s[44:45], s[4:5]
	s_delay_alu instid0(SALU_CYCLE_1)
	v_cmpx_gt_u64_e64 s[46:47], v[0:1]
	s_cbranch_execnz .LBB2_51
.LBB2_4:
	s_or_b32 exec_lo, exec_lo, s1
	s_mov_b32 s0, 0
.LBB2_5:
	s_delay_alu instid0(SALU_CYCLE_1)
	s_and_not1_b32 vcc_lo, exec_lo, s0
	s_cbranch_vccnz .LBB2_8
; %bb.6:
	s_lshr_b64 s[34:35], s[12:13], 2
	v_mov_b64_e32 v[2:3], v[0:1]
	s_wait_kmcnt 0x0
	s_mul_u64 s[42:43], s[34:35], s[10:11]
	s_mov_b32 s33, 0
	s_mul_u64 s[44:45], s[42:43], s[8:9]
	s_mov_b32 s1, exec_lo
	s_mul_u64 s[46:47], s[44:45], s[6:7]
	s_delay_alu instid0(SALU_CYCLE_1) | instskip(NEXT) | instid1(SALU_CYCLE_1)
	s_mul_u64 s[48:49], s[46:47], s[4:5]
	v_cmpx_gt_u64_e64 s[48:49], v[0:1]
	s_cbranch_execnz .LBB2_68
.LBB2_7:
	s_or_b32 exec_lo, exec_lo, s1
.LBB2_8:
	s_mov_b32 s0, 0
.LBB2_9:
	s_delay_alu instid0(SALU_CYCLE_1)
	s_and_not1_b32 vcc_lo, exec_lo, s0
	s_cbranch_vccnz .LBB2_12
; %bb.10:
	s_lshr_b64 s[22:23], s[12:13], 2
	v_mov_b64_e32 v[2:3], v[0:1]
	s_mul_u64 s[34:35], s[22:23], s[10:11]
	s_mov_b32 s33, 0
	s_wait_kmcnt 0x0
	s_mul_u64 s[42:43], s[34:35], s[8:9]
	s_mov_b32 s1, exec_lo
	s_mul_u64 s[44:45], s[42:43], s[6:7]
	s_delay_alu instid0(SALU_CYCLE_1) | instskip(NEXT) | instid1(SALU_CYCLE_1)
	s_mul_u64 s[46:47], s[44:45], s[4:5]
	v_cmpx_gt_u64_e64 s[46:47], v[0:1]
	s_cbranch_execnz .LBB2_34
.LBB2_11:
	s_or_b32 exec_lo, exec_lo, s1
.LBB2_12:
	s_mov_b32 s35, 0
.LBB2_13:
	s_delay_alu instid0(SALU_CYCLE_1)
	s_and_not1_b32 vcc_lo, exec_lo, s35
	s_cbranch_vccnz .LBB2_15
; %bb.14:
	s_lshr_b64 s[12:13], s[12:13], 2
	s_mov_b32 s1, 0
	s_mul_u64 s[10:11], s[12:13], s[10:11]
	s_mov_b32 s0, exec_lo
	s_mul_u64 s[8:9], s[10:11], s[8:9]
	s_delay_alu instid0(SALU_CYCLE_1) | instskip(NEXT) | instid1(SALU_CYCLE_1)
	s_mul_u64 s[6:7], s[8:9], s[6:7]
	s_mul_u64 s[4:5], s[6:7], s[4:5]
	s_delay_alu instid0(SALU_CYCLE_1)
	v_cmpx_gt_u64_e64 s[4:5], v[0:1]
	s_cbranch_execnz .LBB2_17
.LBB2_15:
	s_endpgm
.LBB2_16:                               ;   in Loop: Header=BB2_17 Depth=1
	s_or_b32 exec_lo, exec_lo, s0
	v_mul_u64_e32 v[10:11], s[14:15], v[2:3]
	v_mul_u64_e32 v[14:15], s[16:17], v[4:5]
	;; [unrolled: 1-line block ×9, first 2 shown]
	v_add_nc_u64_e32 v[0:1], s[2:3], v[0:1]
	s_delay_alu instid0(VALU_DEP_1) | instskip(SKIP_4) | instid1(VALU_DEP_3)
	v_cmp_le_u64_e32 vcc_lo, s[4:5], v[0:1]
	s_or_b32 s1, vcc_lo, s1
	v_lshl_add_u64 v[10:11], v[10:11], 2, s[36:37]
	v_sub_nc_u64_e32 v[8:9], v[8:9], v[16:17]
	v_lshl_add_u64 v[2:3], v[2:3], 2, s[38:39]
	v_lshl_add_u64 v[10:11], v[14:15], 2, v[10:11]
	s_delay_alu instid0(VALU_DEP_3) | instskip(NEXT) | instid1(VALU_DEP_3)
	v_lshlrev_b64_e32 v[14:15], 4, v[8:9]
	v_lshl_add_u64 v[2:3], v[4:5], 2, v[2:3]
	s_delay_alu instid0(VALU_DEP_3) | instskip(NEXT) | instid1(VALU_DEP_2)
	v_lshl_add_u64 v[10:11], v[18:19], 2, v[10:11]
	v_lshl_add_u64 v[2:3], v[6:7], 2, v[2:3]
	s_delay_alu instid0(VALU_DEP_2) | instskip(NEXT) | instid1(VALU_DEP_2)
	v_lshl_add_u64 v[8:9], v[20:21], 2, v[10:11]
	v_lshl_add_u64 v[2:3], v[12:13], 2, v[2:3]
	s_delay_alu instid0(VALU_DEP_2) | instskip(NEXT) | instid1(VALU_DEP_2)
	v_add_nc_u64_e32 v[8:9], v[8:9], v[14:15]
	v_add_nc_u64_e32 v[2:3], v[2:3], v[14:15]
	global_load_b128 v[8:11], v[8:9], off
	s_wait_loadcnt 0x0
	global_store_b128 v[2:3], v[8:11], off
	s_wait_xcnt 0x0
	s_and_not1_b32 exec_lo, exec_lo, s1
	s_cbranch_execz .LBB2_15
.LBB2_17:                               ; =>This Inner Loop Header: Depth=1
	v_dual_mov_b32 v4, 0 :: v_dual_bitop2_b32 v5, s7, v1 bitop3:0x54
                                        ; implicit-def: $vgpr2_vgpr3
	s_mov_b32 s0, exec_lo
	s_delay_alu instid0(VALU_DEP_1)
	v_cmpx_ne_u64_e32 0, v[4:5]
	s_xor_b32 s22, exec_lo, s0
	s_cbranch_execz .LBB2_19
; %bb.18:                               ;   in Loop: Header=BB2_17 Depth=1
	s_cvt_f32_u32 s0, s6
	s_cvt_f32_u32 s23, s7
	s_wait_kmcnt 0x0
	s_sub_nc_u64 s[40:41], 0, s[6:7]
	s_mov_b32 s45, 0
	v_dual_mov_b32 v2, v0 :: v_dual_mov_b32 v3, v4
	s_fmamk_f32 s0, s23, 0x4f800000, s0
	v_dual_mov_b32 v6, v1 :: v_dual_mov_b32 v7, v4
	v_dual_mov_b32 v11, v4 :: v_dual_mov_b32 v5, v4
	s_delay_alu instid0(SALU_CYCLE_1) | instskip(NEXT) | instid1(TRANS32_DEP_1)
	v_s_rcp_f32 s0, s0
	s_mul_f32 s0, s0, 0x5f7ffffc
	s_delay_alu instid0(SALU_CYCLE_3) | instskip(NEXT) | instid1(SALU_CYCLE_3)
	s_mul_f32 s23, s0, 0x2f800000
	s_trunc_f32 s23, s23
	s_delay_alu instid0(SALU_CYCLE_3) | instskip(SKIP_1) | instid1(SALU_CYCLE_2)
	s_fmamk_f32 s0, s23, 0xcf800000, s0
	s_cvt_u32_f32 s35, s23
	s_cvt_u32_f32 s34, s0
	s_delay_alu instid0(SALU_CYCLE_3) | instskip(NEXT) | instid1(SALU_CYCLE_1)
	s_mul_u64 s[42:43], s[40:41], s[34:35]
	s_mul_hi_u32 s47, s34, s43
	s_mul_i32 s46, s34, s43
	s_mul_hi_u32 s44, s34, s42
	s_mul_i32 s23, s35, s42
	s_add_nc_u64 s[46:47], s[44:45], s[46:47]
	s_mul_hi_u32 s0, s35, s42
	s_mul_hi_u32 s33, s35, s43
	s_add_co_u32 s23, s46, s23
	s_add_co_ci_u32 s44, s47, s0
	s_mul_i32 s42, s35, s43
	s_add_co_ci_u32 s43, s33, 0
	s_delay_alu instid0(SALU_CYCLE_1) | instskip(NEXT) | instid1(SALU_CYCLE_1)
	s_add_nc_u64 s[42:43], s[44:45], s[42:43]
	s_add_co_u32 s34, s34, s42
	s_cselect_b32 s0, -1, 0
	s_delay_alu instid0(SALU_CYCLE_1) | instskip(SKIP_1) | instid1(SALU_CYCLE_1)
	s_cmp_lg_u32 s0, 0
	s_add_co_ci_u32 s35, s35, s43
	s_mul_u64 s[40:41], s[40:41], s[34:35]
	s_delay_alu instid0(SALU_CYCLE_1)
	s_mul_hi_u32 s43, s34, s41
	s_mul_i32 s42, s34, s41
	s_mul_hi_u32 s44, s34, s40
	s_mul_i32 s23, s35, s40
	s_add_nc_u64 s[42:43], s[44:45], s[42:43]
	s_mul_hi_u32 s0, s35, s40
	s_mul_hi_u32 s33, s35, s41
	s_add_co_u32 s23, s42, s23
	s_add_co_ci_u32 s44, s43, s0
	s_mul_i32 s40, s35, s41
	s_add_co_ci_u32 s41, s33, 0
	s_delay_alu instid0(SALU_CYCLE_1) | instskip(NEXT) | instid1(SALU_CYCLE_1)
	s_add_nc_u64 s[40:41], s[44:45], s[40:41]
	s_add_co_u32 s0, s34, s40
	s_cselect_b32 s23, -1, 0
	v_nop
	v_mul_hi_u32 v10, v0, s0
	s_cmp_lg_u32 s23, 0
	s_add_co_ci_u32 s44, s35, s41
	s_mov_b64 s[34:35], 0xffffffff
	v_mul_u64_e32 v[2:3], s[44:45], v[2:3]
	s_and_b64 s[34:35], s[0:1], s[34:35]
	s_delay_alu instid0(SALU_CYCLE_1) | instskip(SKIP_1) | instid1(VALU_DEP_3)
	v_mul_u64_e32 v[8:9], s[34:35], v[6:7]
	v_mul_u64_e32 v[6:7], s[44:45], v[6:7]
	v_add_nc_u64_e32 v[2:3], v[10:11], v[2:3]
	s_delay_alu instid0(VALU_DEP_1) | instskip(NEXT) | instid1(VALU_DEP_2)
	v_add_co_u32 v2, vcc_lo, v2, v8
	v_add_co_ci_u32_e32 v4, vcc_lo, v3, v9, vcc_lo
	s_delay_alu instid0(VALU_DEP_4) | instskip(NEXT) | instid1(VALU_DEP_1)
	v_add_co_ci_u32_e32 v7, vcc_lo, 0, v7, vcc_lo
	v_add_nc_u64_e32 v[2:3], v[4:5], v[6:7]
	s_delay_alu instid0(VALU_DEP_1) | instskip(NEXT) | instid1(VALU_DEP_1)
	v_mul_u64_e32 v[4:5], s[6:7], v[2:3]
	v_sub_nc_u32_e32 v6, v1, v5
	s_delay_alu instid0(VALU_DEP_2) | instskip(NEXT) | instid1(VALU_DEP_1)
	v_sub_co_u32 v4, vcc_lo, v0, v4
	v_sub_co_ci_u32_e64 v11, null, v1, v5, vcc_lo
	s_delay_alu instid0(VALU_DEP_3) | instskip(NEXT) | instid1(VALU_DEP_3)
	v_subrev_co_ci_u32_e64 v6, null, s7, v6, vcc_lo
	v_sub_co_u32 v8, s0, v4, s6
	v_cmp_le_u32_e32 vcc_lo, s6, v4
	s_delay_alu instid0(VALU_DEP_3) | instskip(NEXT) | instid1(VALU_DEP_3)
	v_subrev_co_ci_u32_e64 v9, null, 0, v6, s0
	v_cmp_le_u32_e64 s0, s6, v8
	v_add_nc_u64_e32 v[6:7], 2, v[2:3]
	v_cndmask_b32_e64 v12, 0, -1, vcc_lo
	s_delay_alu instid0(VALU_DEP_4) | instskip(SKIP_3) | instid1(VALU_DEP_1)
	v_cmp_eq_u32_e32 vcc_lo, s7, v9
	v_add_nc_u64_e32 v[4:5], 1, v[2:3]
	v_cndmask_b32_e64 v8, 0, -1, s0
	v_cmp_le_u32_e64 s0, s7, v9
	v_cndmask_b32_e64 v10, 0, -1, s0
	v_cmp_eq_u32_e64 s0, s7, v11
	s_delay_alu instid0(VALU_DEP_2) | instskip(SKIP_2) | instid1(VALU_DEP_3)
	v_cndmask_b32_e32 v8, v10, v8, vcc_lo
	v_cmp_le_u32_e32 vcc_lo, s7, v11
	v_cndmask_b32_e64 v9, 0, -1, vcc_lo
	v_cmp_ne_u32_e32 vcc_lo, 0, v8
	s_delay_alu instid0(VALU_DEP_2) | instskip(SKIP_1) | instid1(VALU_DEP_2)
	v_dual_cndmask_b32 v8, v9, v12, s0 :: v_dual_cndmask_b32 v4, v4, v6, vcc_lo
	v_cndmask_b32_e32 v5, v5, v7, vcc_lo
	v_cmp_ne_u32_e32 vcc_lo, 0, v8
	s_delay_alu instid0(VALU_DEP_2)
	v_dual_cndmask_b32 v2, v2, v4 :: v_dual_cndmask_b32 v3, v3, v5
.LBB2_19:                               ;   in Loop: Header=BB2_17 Depth=1
	s_and_not1_saveexec_b32 s0, s22
	s_cbranch_execz .LBB2_21
; %bb.20:                               ;   in Loop: Header=BB2_17 Depth=1
	v_cvt_f32_u32_e32 v2, s6
	s_sub_co_i32 s22, 0, s6
	s_delay_alu instid0(VALU_DEP_1) | instskip(SKIP_1) | instid1(TRANS32_DEP_1)
	v_rcp_iflag_f32_e32 v2, v2
	v_nop
	v_mul_f32_e32 v2, 0x4f7ffffe, v2
	s_delay_alu instid0(VALU_DEP_1) | instskip(NEXT) | instid1(VALU_DEP_1)
	v_cvt_u32_f32_e32 v2, v2
	v_mul_lo_u32 v3, s22, v2
	s_delay_alu instid0(VALU_DEP_1) | instskip(NEXT) | instid1(VALU_DEP_1)
	v_mul_hi_u32 v3, v2, v3
	v_add_nc_u32_e32 v2, v2, v3
	s_delay_alu instid0(VALU_DEP_1) | instskip(NEXT) | instid1(VALU_DEP_1)
	v_mul_hi_u32 v2, v0, v2
	v_mul_lo_u32 v3, v2, s6
	s_delay_alu instid0(VALU_DEP_1) | instskip(NEXT) | instid1(VALU_DEP_1)
	v_dual_add_nc_u32 v4, 1, v2 :: v_dual_sub_nc_u32 v3, v0, v3
	v_subrev_nc_u32_e32 v5, s6, v3
	v_cmp_le_u32_e32 vcc_lo, s6, v3
	s_delay_alu instid0(VALU_DEP_2) | instskip(NEXT) | instid1(VALU_DEP_1)
	v_dual_cndmask_b32 v3, v3, v5 :: v_dual_cndmask_b32 v2, v2, v4
	v_cmp_le_u32_e32 vcc_lo, s6, v3
	s_delay_alu instid0(VALU_DEP_2) | instskip(NEXT) | instid1(VALU_DEP_1)
	v_dual_mov_b32 v3, 0 :: v_dual_add_nc_u32 v4, 1, v2
	v_cndmask_b32_e32 v2, v2, v4, vcc_lo
.LBB2_21:                               ;   in Loop: Header=BB2_17 Depth=1
	s_or_b32 exec_lo, exec_lo, s0
	s_delay_alu instid0(VALU_DEP_1) | instskip(SKIP_2) | instid1(VALU_DEP_2)
	v_mul_u64_e32 v[4:5], s[6:7], v[2:3]
	s_mov_b32 s0, exec_lo
	v_mov_b32_e32 v8, 0
	v_sub_nc_u64_e32 v[6:7], v[0:1], v[4:5]
                                        ; implicit-def: $vgpr4_vgpr5
	s_delay_alu instid0(VALU_DEP_1) | instskip(NEXT) | instid1(VALU_DEP_1)
	v_or_b32_e32 v9, s9, v7
	v_cmpx_ne_u64_e32 0, v[8:9]
	s_xor_b32 s22, exec_lo, s0
	s_cbranch_execz .LBB2_23
; %bb.22:                               ;   in Loop: Header=BB2_17 Depth=1
	s_cvt_f32_u32 s0, s8
	s_cvt_f32_u32 s23, s9
	s_wait_kmcnt 0x0
	s_sub_nc_u64 s[40:41], 0, s[8:9]
	s_mov_b32 s45, 0
	v_dual_mov_b32 v4, v6 :: v_dual_mov_b32 v5, v8
	s_fmamk_f32 s0, s23, 0x4f800000, s0
	v_dual_mov_b32 v10, v7 :: v_dual_mov_b32 v11, v8
	v_dual_mov_b32 v15, v8 :: v_dual_mov_b32 v9, v8
	s_delay_alu instid0(SALU_CYCLE_1) | instskip(NEXT) | instid1(TRANS32_DEP_1)
	v_s_rcp_f32 s0, s0
	s_mul_f32 s0, s0, 0x5f7ffffc
	s_delay_alu instid0(SALU_CYCLE_3) | instskip(NEXT) | instid1(SALU_CYCLE_3)
	s_mul_f32 s23, s0, 0x2f800000
	s_trunc_f32 s23, s23
	s_delay_alu instid0(SALU_CYCLE_3) | instskip(SKIP_1) | instid1(SALU_CYCLE_2)
	s_fmamk_f32 s0, s23, 0xcf800000, s0
	s_cvt_u32_f32 s35, s23
	s_cvt_u32_f32 s34, s0
	s_delay_alu instid0(SALU_CYCLE_3) | instskip(NEXT) | instid1(SALU_CYCLE_1)
	s_mul_u64 s[42:43], s[40:41], s[34:35]
	s_mul_hi_u32 s47, s34, s43
	s_mul_i32 s46, s34, s43
	s_mul_hi_u32 s44, s34, s42
	s_mul_i32 s23, s35, s42
	s_add_nc_u64 s[46:47], s[44:45], s[46:47]
	s_mul_hi_u32 s0, s35, s42
	s_mul_hi_u32 s33, s35, s43
	s_add_co_u32 s23, s46, s23
	s_add_co_ci_u32 s44, s47, s0
	s_mul_i32 s42, s35, s43
	s_add_co_ci_u32 s43, s33, 0
	s_delay_alu instid0(SALU_CYCLE_1) | instskip(NEXT) | instid1(SALU_CYCLE_1)
	s_add_nc_u64 s[42:43], s[44:45], s[42:43]
	s_add_co_u32 s34, s34, s42
	s_cselect_b32 s0, -1, 0
	s_delay_alu instid0(SALU_CYCLE_1) | instskip(SKIP_1) | instid1(SALU_CYCLE_1)
	s_cmp_lg_u32 s0, 0
	s_add_co_ci_u32 s35, s35, s43
	s_mul_u64 s[40:41], s[40:41], s[34:35]
	s_delay_alu instid0(SALU_CYCLE_1)
	s_mul_hi_u32 s43, s34, s41
	s_mul_i32 s42, s34, s41
	s_mul_hi_u32 s44, s34, s40
	s_mul_i32 s23, s35, s40
	s_add_nc_u64 s[42:43], s[44:45], s[42:43]
	s_mul_hi_u32 s0, s35, s40
	s_mul_hi_u32 s33, s35, s41
	s_add_co_u32 s23, s42, s23
	s_add_co_ci_u32 s44, s43, s0
	s_mul_i32 s40, s35, s41
	s_add_co_ci_u32 s41, s33, 0
	s_delay_alu instid0(SALU_CYCLE_1) | instskip(NEXT) | instid1(SALU_CYCLE_1)
	s_add_nc_u64 s[40:41], s[44:45], s[40:41]
	s_add_co_u32 s0, s34, s40
	s_cselect_b32 s23, -1, 0
	v_nop
	v_mul_hi_u32 v14, v6, s0
	s_cmp_lg_u32 s23, 0
	s_add_co_ci_u32 s44, s35, s41
	s_mov_b64 s[34:35], 0xffffffff
	v_mul_u64_e32 v[4:5], s[44:45], v[4:5]
	s_and_b64 s[34:35], s[0:1], s[34:35]
	s_delay_alu instid0(SALU_CYCLE_1) | instskip(SKIP_1) | instid1(VALU_DEP_3)
	v_mul_u64_e32 v[12:13], s[34:35], v[10:11]
	v_mul_u64_e32 v[10:11], s[44:45], v[10:11]
	v_add_nc_u64_e32 v[4:5], v[14:15], v[4:5]
	s_delay_alu instid0(VALU_DEP_1) | instskip(NEXT) | instid1(VALU_DEP_2)
	v_add_co_u32 v4, vcc_lo, v4, v12
	v_add_co_ci_u32_e32 v8, vcc_lo, v5, v13, vcc_lo
	s_delay_alu instid0(VALU_DEP_4) | instskip(NEXT) | instid1(VALU_DEP_1)
	v_add_co_ci_u32_e32 v11, vcc_lo, 0, v11, vcc_lo
	v_add_nc_u64_e32 v[4:5], v[8:9], v[10:11]
	s_delay_alu instid0(VALU_DEP_1) | instskip(NEXT) | instid1(VALU_DEP_1)
	v_mul_u64_e32 v[8:9], s[8:9], v[4:5]
	v_sub_nc_u32_e32 v10, v7, v9
	s_delay_alu instid0(VALU_DEP_2) | instskip(NEXT) | instid1(VALU_DEP_1)
	v_sub_co_u32 v8, vcc_lo, v6, v8
	v_sub_co_ci_u32_e64 v15, null, v7, v9, vcc_lo
	s_delay_alu instid0(VALU_DEP_3) | instskip(NEXT) | instid1(VALU_DEP_3)
	v_subrev_co_ci_u32_e64 v10, null, s9, v10, vcc_lo
	v_sub_co_u32 v12, s0, v8, s8
	v_cmp_le_u32_e32 vcc_lo, s8, v8
	s_delay_alu instid0(VALU_DEP_3) | instskip(NEXT) | instid1(VALU_DEP_3)
	v_subrev_co_ci_u32_e64 v13, null, 0, v10, s0
	v_cmp_le_u32_e64 s0, s8, v12
	v_add_nc_u64_e32 v[10:11], 2, v[4:5]
	v_cndmask_b32_e64 v16, 0, -1, vcc_lo
	s_delay_alu instid0(VALU_DEP_4) | instskip(SKIP_3) | instid1(VALU_DEP_1)
	v_cmp_eq_u32_e32 vcc_lo, s9, v13
	v_add_nc_u64_e32 v[8:9], 1, v[4:5]
	v_cndmask_b32_e64 v12, 0, -1, s0
	v_cmp_le_u32_e64 s0, s9, v13
	v_cndmask_b32_e64 v14, 0, -1, s0
	v_cmp_eq_u32_e64 s0, s9, v15
	s_delay_alu instid0(VALU_DEP_2) | instskip(SKIP_2) | instid1(VALU_DEP_3)
	v_cndmask_b32_e32 v12, v14, v12, vcc_lo
	v_cmp_le_u32_e32 vcc_lo, s9, v15
	v_cndmask_b32_e64 v13, 0, -1, vcc_lo
	v_cmp_ne_u32_e32 vcc_lo, 0, v12
	s_delay_alu instid0(VALU_DEP_2) | instskip(SKIP_1) | instid1(VALU_DEP_2)
	v_dual_cndmask_b32 v12, v13, v16, s0 :: v_dual_cndmask_b32 v8, v8, v10, vcc_lo
	v_cndmask_b32_e32 v9, v9, v11, vcc_lo
	v_cmp_ne_u32_e32 vcc_lo, 0, v12
	s_delay_alu instid0(VALU_DEP_2)
	v_dual_cndmask_b32 v4, v4, v8 :: v_dual_cndmask_b32 v5, v5, v9
.LBB2_23:                               ;   in Loop: Header=BB2_17 Depth=1
	s_and_not1_saveexec_b32 s0, s22
	s_cbranch_execz .LBB2_25
; %bb.24:                               ;   in Loop: Header=BB2_17 Depth=1
	v_cvt_f32_u32_e32 v4, s8
	s_sub_co_i32 s22, 0, s8
	s_delay_alu instid0(VALU_DEP_1) | instskip(SKIP_1) | instid1(TRANS32_DEP_1)
	v_rcp_iflag_f32_e32 v4, v4
	v_nop
	v_mul_f32_e32 v4, 0x4f7ffffe, v4
	s_delay_alu instid0(VALU_DEP_1) | instskip(NEXT) | instid1(VALU_DEP_1)
	v_cvt_u32_f32_e32 v4, v4
	v_mul_lo_u32 v5, s22, v4
	s_delay_alu instid0(VALU_DEP_1) | instskip(NEXT) | instid1(VALU_DEP_1)
	v_mul_hi_u32 v5, v4, v5
	v_add_nc_u32_e32 v4, v4, v5
	s_delay_alu instid0(VALU_DEP_1) | instskip(NEXT) | instid1(VALU_DEP_1)
	v_mul_hi_u32 v4, v6, v4
	v_mul_lo_u32 v5, v4, s8
	s_delay_alu instid0(VALU_DEP_1) | instskip(NEXT) | instid1(VALU_DEP_1)
	v_sub_nc_u32_e32 v5, v6, v5
	v_subrev_nc_u32_e32 v9, s8, v5
	v_cmp_le_u32_e32 vcc_lo, s8, v5
	s_delay_alu instid0(VALU_DEP_2) | instskip(NEXT) | instid1(VALU_DEP_1)
	v_dual_cndmask_b32 v5, v5, v9 :: v_dual_add_nc_u32 v8, 1, v4
	v_cndmask_b32_e32 v4, v4, v8, vcc_lo
	s_delay_alu instid0(VALU_DEP_2) | instskip(NEXT) | instid1(VALU_DEP_2)
	v_cmp_le_u32_e32 vcc_lo, s8, v5
	v_dual_mov_b32 v5, 0 :: v_dual_add_nc_u32 v8, 1, v4
	s_delay_alu instid0(VALU_DEP_1)
	v_cndmask_b32_e32 v4, v4, v8, vcc_lo
.LBB2_25:                               ;   in Loop: Header=BB2_17 Depth=1
	s_or_b32 exec_lo, exec_lo, s0
	s_delay_alu instid0(VALU_DEP_1) | instskip(SKIP_2) | instid1(VALU_DEP_2)
	v_mul_u64_e32 v[8:9], s[8:9], v[4:5]
	s_mov_b32 s0, exec_lo
	v_mov_b32_e32 v10, 0
	v_sub_nc_u64_e32 v[8:9], v[6:7], v[8:9]
                                        ; implicit-def: $vgpr6_vgpr7
	s_delay_alu instid0(VALU_DEP_1) | instskip(NEXT) | instid1(VALU_DEP_1)
	v_or_b32_e32 v11, s11, v9
	v_cmpx_ne_u64_e32 0, v[10:11]
	s_xor_b32 s22, exec_lo, s0
	s_cbranch_execz .LBB2_27
; %bb.26:                               ;   in Loop: Header=BB2_17 Depth=1
	s_cvt_f32_u32 s0, s10
	s_cvt_f32_u32 s23, s11
	s_wait_kmcnt 0x0
	s_sub_nc_u64 s[40:41], 0, s[10:11]
	s_mov_b32 s45, 0
	v_dual_mov_b32 v6, v8 :: v_dual_mov_b32 v7, v10
	s_fmamk_f32 s0, s23, 0x4f800000, s0
	v_dual_mov_b32 v12, v9 :: v_dual_mov_b32 v13, v10
	v_dual_mov_b32 v17, v10 :: v_dual_mov_b32 v11, v10
	s_delay_alu instid0(SALU_CYCLE_1) | instskip(NEXT) | instid1(TRANS32_DEP_1)
	v_s_rcp_f32 s0, s0
	s_mul_f32 s0, s0, 0x5f7ffffc
	s_delay_alu instid0(SALU_CYCLE_3) | instskip(NEXT) | instid1(SALU_CYCLE_3)
	s_mul_f32 s23, s0, 0x2f800000
	s_trunc_f32 s23, s23
	s_delay_alu instid0(SALU_CYCLE_3) | instskip(SKIP_1) | instid1(SALU_CYCLE_2)
	s_fmamk_f32 s0, s23, 0xcf800000, s0
	s_cvt_u32_f32 s35, s23
	s_cvt_u32_f32 s34, s0
	s_delay_alu instid0(SALU_CYCLE_3) | instskip(NEXT) | instid1(SALU_CYCLE_1)
	s_mul_u64 s[42:43], s[40:41], s[34:35]
	s_mul_hi_u32 s47, s34, s43
	s_mul_i32 s46, s34, s43
	s_mul_hi_u32 s44, s34, s42
	s_mul_i32 s23, s35, s42
	s_add_nc_u64 s[46:47], s[44:45], s[46:47]
	s_mul_hi_u32 s0, s35, s42
	s_mul_hi_u32 s33, s35, s43
	s_add_co_u32 s23, s46, s23
	s_add_co_ci_u32 s44, s47, s0
	s_mul_i32 s42, s35, s43
	s_add_co_ci_u32 s43, s33, 0
	s_delay_alu instid0(SALU_CYCLE_1) | instskip(NEXT) | instid1(SALU_CYCLE_1)
	s_add_nc_u64 s[42:43], s[44:45], s[42:43]
	s_add_co_u32 s34, s34, s42
	s_cselect_b32 s0, -1, 0
	s_delay_alu instid0(SALU_CYCLE_1) | instskip(SKIP_1) | instid1(SALU_CYCLE_1)
	s_cmp_lg_u32 s0, 0
	s_add_co_ci_u32 s35, s35, s43
	s_mul_u64 s[40:41], s[40:41], s[34:35]
	s_delay_alu instid0(SALU_CYCLE_1)
	s_mul_hi_u32 s43, s34, s41
	s_mul_i32 s42, s34, s41
	s_mul_hi_u32 s44, s34, s40
	s_mul_i32 s23, s35, s40
	s_add_nc_u64 s[42:43], s[44:45], s[42:43]
	s_mul_hi_u32 s0, s35, s40
	s_mul_hi_u32 s33, s35, s41
	s_add_co_u32 s23, s42, s23
	s_add_co_ci_u32 s44, s43, s0
	s_mul_i32 s40, s35, s41
	s_add_co_ci_u32 s41, s33, 0
	s_delay_alu instid0(SALU_CYCLE_1) | instskip(NEXT) | instid1(SALU_CYCLE_1)
	s_add_nc_u64 s[40:41], s[44:45], s[40:41]
	s_add_co_u32 s0, s34, s40
	s_cselect_b32 s23, -1, 0
	v_nop
	v_mul_hi_u32 v16, v8, s0
	s_cmp_lg_u32 s23, 0
	s_add_co_ci_u32 s44, s35, s41
	s_mov_b64 s[34:35], 0xffffffff
	v_mul_u64_e32 v[6:7], s[44:45], v[6:7]
	s_and_b64 s[34:35], s[0:1], s[34:35]
	s_delay_alu instid0(SALU_CYCLE_1) | instskip(SKIP_1) | instid1(VALU_DEP_3)
	v_mul_u64_e32 v[14:15], s[34:35], v[12:13]
	v_mul_u64_e32 v[12:13], s[44:45], v[12:13]
	v_add_nc_u64_e32 v[6:7], v[16:17], v[6:7]
	s_delay_alu instid0(VALU_DEP_1) | instskip(NEXT) | instid1(VALU_DEP_2)
	v_add_co_u32 v6, vcc_lo, v6, v14
	v_add_co_ci_u32_e32 v10, vcc_lo, v7, v15, vcc_lo
	s_delay_alu instid0(VALU_DEP_4) | instskip(NEXT) | instid1(VALU_DEP_1)
	v_add_co_ci_u32_e32 v13, vcc_lo, 0, v13, vcc_lo
	v_add_nc_u64_e32 v[6:7], v[10:11], v[12:13]
	s_delay_alu instid0(VALU_DEP_1) | instskip(NEXT) | instid1(VALU_DEP_1)
	v_mul_u64_e32 v[10:11], s[10:11], v[6:7]
	v_sub_nc_u32_e32 v12, v9, v11
	s_delay_alu instid0(VALU_DEP_2) | instskip(NEXT) | instid1(VALU_DEP_1)
	v_sub_co_u32 v10, vcc_lo, v8, v10
	v_sub_co_ci_u32_e64 v17, null, v9, v11, vcc_lo
	s_delay_alu instid0(VALU_DEP_3) | instskip(NEXT) | instid1(VALU_DEP_3)
	v_subrev_co_ci_u32_e64 v12, null, s11, v12, vcc_lo
	v_sub_co_u32 v14, s0, v10, s10
	v_cmp_le_u32_e32 vcc_lo, s10, v10
	s_delay_alu instid0(VALU_DEP_3) | instskip(NEXT) | instid1(VALU_DEP_3)
	v_subrev_co_ci_u32_e64 v15, null, 0, v12, s0
	v_cmp_le_u32_e64 s0, s10, v14
	v_add_nc_u64_e32 v[12:13], 2, v[6:7]
	v_cndmask_b32_e64 v18, 0, -1, vcc_lo
	s_delay_alu instid0(VALU_DEP_4) | instskip(SKIP_3) | instid1(VALU_DEP_1)
	v_cmp_eq_u32_e32 vcc_lo, s11, v15
	v_add_nc_u64_e32 v[10:11], 1, v[6:7]
	v_cndmask_b32_e64 v14, 0, -1, s0
	v_cmp_le_u32_e64 s0, s11, v15
	v_cndmask_b32_e64 v16, 0, -1, s0
	v_cmp_eq_u32_e64 s0, s11, v17
	s_delay_alu instid0(VALU_DEP_2) | instskip(SKIP_2) | instid1(VALU_DEP_3)
	v_cndmask_b32_e32 v14, v16, v14, vcc_lo
	v_cmp_le_u32_e32 vcc_lo, s11, v17
	v_cndmask_b32_e64 v15, 0, -1, vcc_lo
	v_cmp_ne_u32_e32 vcc_lo, 0, v14
	s_delay_alu instid0(VALU_DEP_2) | instskip(SKIP_1) | instid1(VALU_DEP_2)
	v_dual_cndmask_b32 v14, v15, v18, s0 :: v_dual_cndmask_b32 v10, v10, v12, vcc_lo
	v_cndmask_b32_e32 v11, v11, v13, vcc_lo
	v_cmp_ne_u32_e32 vcc_lo, 0, v14
	s_delay_alu instid0(VALU_DEP_2)
	v_dual_cndmask_b32 v6, v6, v10 :: v_dual_cndmask_b32 v7, v7, v11
.LBB2_27:                               ;   in Loop: Header=BB2_17 Depth=1
	s_and_not1_saveexec_b32 s0, s22
	s_cbranch_execz .LBB2_29
; %bb.28:                               ;   in Loop: Header=BB2_17 Depth=1
	v_cvt_f32_u32_e32 v6, s10
	s_sub_co_i32 s22, 0, s10
	s_delay_alu instid0(VALU_DEP_1) | instskip(SKIP_1) | instid1(TRANS32_DEP_1)
	v_rcp_iflag_f32_e32 v6, v6
	v_nop
	v_mul_f32_e32 v6, 0x4f7ffffe, v6
	s_delay_alu instid0(VALU_DEP_1) | instskip(NEXT) | instid1(VALU_DEP_1)
	v_cvt_u32_f32_e32 v6, v6
	v_mul_lo_u32 v7, s22, v6
	s_delay_alu instid0(VALU_DEP_1) | instskip(NEXT) | instid1(VALU_DEP_1)
	v_mul_hi_u32 v7, v6, v7
	v_add_nc_u32_e32 v6, v6, v7
	s_delay_alu instid0(VALU_DEP_1) | instskip(NEXT) | instid1(VALU_DEP_1)
	v_mul_hi_u32 v6, v8, v6
	v_mul_lo_u32 v7, v6, s10
	s_delay_alu instid0(VALU_DEP_1) | instskip(NEXT) | instid1(VALU_DEP_1)
	v_sub_nc_u32_e32 v7, v8, v7
	v_subrev_nc_u32_e32 v11, s10, v7
	v_cmp_le_u32_e32 vcc_lo, s10, v7
	s_delay_alu instid0(VALU_DEP_2) | instskip(NEXT) | instid1(VALU_DEP_1)
	v_dual_cndmask_b32 v7, v7, v11 :: v_dual_add_nc_u32 v10, 1, v6
	v_cndmask_b32_e32 v6, v6, v10, vcc_lo
	s_delay_alu instid0(VALU_DEP_2) | instskip(NEXT) | instid1(VALU_DEP_2)
	v_cmp_le_u32_e32 vcc_lo, s10, v7
	v_dual_mov_b32 v7, 0 :: v_dual_add_nc_u32 v10, 1, v6
	s_delay_alu instid0(VALU_DEP_1)
	v_cndmask_b32_e32 v6, v6, v10, vcc_lo
.LBB2_29:                               ;   in Loop: Header=BB2_17 Depth=1
	s_or_b32 exec_lo, exec_lo, s0
	s_delay_alu instid0(VALU_DEP_1) | instskip(SKIP_1) | instid1(VALU_DEP_1)
	v_mul_u64_e32 v[10:11], s[10:11], v[6:7]
                                        ; implicit-def: $vgpr12_vgpr13
	s_mov_b32 s0, exec_lo
	v_sub_nc_u64_e32 v[8:9], v[8:9], v[10:11]
	s_delay_alu instid0(VALU_DEP_1) | instskip(NEXT) | instid1(VALU_DEP_1)
	v_dual_mov_b32 v10, 0 :: v_dual_bitop2_b32 v11, s13, v9 bitop3:0x54
	v_cmpx_ne_u64_e32 0, v[10:11]
	s_xor_b32 s22, exec_lo, s0
	s_cbranch_execz .LBB2_31
; %bb.30:                               ;   in Loop: Header=BB2_17 Depth=1
	s_cvt_f32_u32 s0, s12
	s_cvt_f32_u32 s23, s13
	s_wait_kmcnt 0x0
	s_sub_nc_u64 s[40:41], 0, s[12:13]
	s_mov_b32 s45, 0
	v_dual_mov_b32 v12, v8 :: v_dual_mov_b32 v13, v10
	s_fmamk_f32 s0, s23, 0x4f800000, s0
	v_dual_mov_b32 v14, v9 :: v_dual_mov_b32 v15, v10
	v_dual_mov_b32 v19, v10 :: v_dual_mov_b32 v11, v10
	s_delay_alu instid0(SALU_CYCLE_1) | instskip(NEXT) | instid1(TRANS32_DEP_1)
	v_s_rcp_f32 s0, s0
	s_mul_f32 s0, s0, 0x5f7ffffc
	s_delay_alu instid0(SALU_CYCLE_3) | instskip(NEXT) | instid1(SALU_CYCLE_3)
	s_mul_f32 s23, s0, 0x2f800000
	s_trunc_f32 s23, s23
	s_delay_alu instid0(SALU_CYCLE_3) | instskip(SKIP_1) | instid1(SALU_CYCLE_2)
	s_fmamk_f32 s0, s23, 0xcf800000, s0
	s_cvt_u32_f32 s35, s23
	s_cvt_u32_f32 s34, s0
	s_delay_alu instid0(SALU_CYCLE_3) | instskip(NEXT) | instid1(SALU_CYCLE_1)
	s_mul_u64 s[42:43], s[40:41], s[34:35]
	s_mul_hi_u32 s47, s34, s43
	s_mul_i32 s46, s34, s43
	s_mul_hi_u32 s44, s34, s42
	s_mul_i32 s23, s35, s42
	s_add_nc_u64 s[46:47], s[44:45], s[46:47]
	s_mul_hi_u32 s0, s35, s42
	s_mul_hi_u32 s33, s35, s43
	s_add_co_u32 s23, s46, s23
	s_add_co_ci_u32 s44, s47, s0
	s_mul_i32 s42, s35, s43
	s_add_co_ci_u32 s43, s33, 0
	s_delay_alu instid0(SALU_CYCLE_1) | instskip(NEXT) | instid1(SALU_CYCLE_1)
	s_add_nc_u64 s[42:43], s[44:45], s[42:43]
	s_add_co_u32 s34, s34, s42
	s_cselect_b32 s0, -1, 0
	s_delay_alu instid0(SALU_CYCLE_1) | instskip(SKIP_1) | instid1(SALU_CYCLE_1)
	s_cmp_lg_u32 s0, 0
	s_add_co_ci_u32 s35, s35, s43
	s_mul_u64 s[40:41], s[40:41], s[34:35]
	s_delay_alu instid0(SALU_CYCLE_1)
	s_mul_hi_u32 s43, s34, s41
	s_mul_i32 s42, s34, s41
	s_mul_hi_u32 s44, s34, s40
	s_mul_i32 s23, s35, s40
	s_add_nc_u64 s[42:43], s[44:45], s[42:43]
	s_mul_hi_u32 s0, s35, s40
	s_mul_hi_u32 s33, s35, s41
	s_add_co_u32 s23, s42, s23
	s_add_co_ci_u32 s44, s43, s0
	s_mul_i32 s40, s35, s41
	s_add_co_ci_u32 s41, s33, 0
	s_delay_alu instid0(SALU_CYCLE_1) | instskip(NEXT) | instid1(SALU_CYCLE_1)
	s_add_nc_u64 s[40:41], s[44:45], s[40:41]
	s_add_co_u32 s0, s34, s40
	s_cselect_b32 s23, -1, 0
	v_nop
	v_mul_hi_u32 v18, v8, s0
	s_cmp_lg_u32 s23, 0
	s_add_co_ci_u32 s44, s35, s41
	s_mov_b64 s[34:35], 0xffffffff
	v_mul_u64_e32 v[12:13], s[44:45], v[12:13]
	s_and_b64 s[34:35], s[0:1], s[34:35]
	s_delay_alu instid0(SALU_CYCLE_1) | instskip(SKIP_1) | instid1(VALU_DEP_3)
	v_mul_u64_e32 v[16:17], s[34:35], v[14:15]
	v_mul_u64_e32 v[14:15], s[44:45], v[14:15]
	v_add_nc_u64_e32 v[12:13], v[18:19], v[12:13]
	s_delay_alu instid0(VALU_DEP_1) | instskip(NEXT) | instid1(VALU_DEP_2)
	v_add_co_u32 v10, vcc_lo, v12, v16
	v_add_co_ci_u32_e32 v10, vcc_lo, v13, v17, vcc_lo
	s_delay_alu instid0(VALU_DEP_4) | instskip(NEXT) | instid1(VALU_DEP_1)
	v_add_co_ci_u32_e32 v15, vcc_lo, 0, v15, vcc_lo
	v_add_nc_u64_e32 v[10:11], v[10:11], v[14:15]
	s_delay_alu instid0(VALU_DEP_1) | instskip(NEXT) | instid1(VALU_DEP_1)
	v_mul_u64_e32 v[12:13], s[12:13], v[10:11]
	v_sub_nc_u32_e32 v14, v9, v13
	s_delay_alu instid0(VALU_DEP_2) | instskip(NEXT) | instid1(VALU_DEP_1)
	v_sub_co_u32 v12, vcc_lo, v8, v12
	v_sub_co_ci_u32_e64 v19, null, v9, v13, vcc_lo
	s_delay_alu instid0(VALU_DEP_3) | instskip(NEXT) | instid1(VALU_DEP_3)
	v_subrev_co_ci_u32_e64 v14, null, s13, v14, vcc_lo
	v_sub_co_u32 v16, s0, v12, s12
	v_cmp_le_u32_e32 vcc_lo, s12, v12
	s_delay_alu instid0(VALU_DEP_3) | instskip(NEXT) | instid1(VALU_DEP_3)
	v_subrev_co_ci_u32_e64 v17, null, 0, v14, s0
	v_cmp_le_u32_e64 s0, s12, v16
	v_add_nc_u64_e32 v[14:15], 2, v[10:11]
	v_cndmask_b32_e64 v20, 0, -1, vcc_lo
	s_delay_alu instid0(VALU_DEP_4) | instskip(SKIP_3) | instid1(VALU_DEP_1)
	v_cmp_eq_u32_e32 vcc_lo, s13, v17
	v_add_nc_u64_e32 v[12:13], 1, v[10:11]
	v_cndmask_b32_e64 v16, 0, -1, s0
	v_cmp_le_u32_e64 s0, s13, v17
	v_cndmask_b32_e64 v18, 0, -1, s0
	v_cmp_eq_u32_e64 s0, s13, v19
	s_delay_alu instid0(VALU_DEP_2) | instskip(SKIP_2) | instid1(VALU_DEP_3)
	v_cndmask_b32_e32 v16, v18, v16, vcc_lo
	v_cmp_le_u32_e32 vcc_lo, s13, v19
	v_cndmask_b32_e64 v17, 0, -1, vcc_lo
	v_cmp_ne_u32_e32 vcc_lo, 0, v16
	s_delay_alu instid0(VALU_DEP_2) | instskip(SKIP_1) | instid1(VALU_DEP_2)
	v_dual_cndmask_b32 v16, v17, v20, s0 :: v_dual_cndmask_b32 v12, v12, v14, vcc_lo
	v_cndmask_b32_e32 v13, v13, v15, vcc_lo
	v_cmp_ne_u32_e32 vcc_lo, 0, v16
	s_delay_alu instid0(VALU_DEP_2)
	v_dual_cndmask_b32 v12, v10, v12 :: v_dual_cndmask_b32 v13, v11, v13
.LBB2_31:                               ;   in Loop: Header=BB2_17 Depth=1
	s_and_not1_saveexec_b32 s0, s22
	s_cbranch_execz .LBB2_16
; %bb.32:                               ;   in Loop: Header=BB2_17 Depth=1
	v_cvt_f32_u32_e32 v10, s12
	s_sub_co_i32 s22, 0, s12
	s_delay_alu instid0(VALU_DEP_1) | instskip(SKIP_1) | instid1(TRANS32_DEP_1)
	v_rcp_iflag_f32_e32 v10, v10
	v_nop
	v_mul_f32_e32 v10, 0x4f7ffffe, v10
	s_delay_alu instid0(VALU_DEP_1) | instskip(NEXT) | instid1(VALU_DEP_1)
	v_cvt_u32_f32_e32 v10, v10
	v_mul_lo_u32 v11, s22, v10
	s_delay_alu instid0(VALU_DEP_1) | instskip(NEXT) | instid1(VALU_DEP_1)
	v_mul_hi_u32 v11, v10, v11
	v_add_nc_u32_e32 v10, v10, v11
	s_delay_alu instid0(VALU_DEP_1) | instskip(NEXT) | instid1(VALU_DEP_1)
	v_mul_hi_u32 v10, v8, v10
	v_mul_lo_u32 v11, v10, s12
	s_delay_alu instid0(VALU_DEP_1) | instskip(NEXT) | instid1(VALU_DEP_1)
	v_dual_add_nc_u32 v12, 1, v10 :: v_dual_sub_nc_u32 v11, v8, v11
	v_subrev_nc_u32_e32 v13, s12, v11
	v_cmp_le_u32_e32 vcc_lo, s12, v11
	s_delay_alu instid0(VALU_DEP_2) | instskip(NEXT) | instid1(VALU_DEP_4)
	v_dual_cndmask_b32 v11, v11, v13, vcc_lo :: v_dual_mov_b32 v13, 0
	v_cndmask_b32_e32 v10, v10, v12, vcc_lo
	s_delay_alu instid0(VALU_DEP_2) | instskip(NEXT) | instid1(VALU_DEP_2)
	v_cmp_le_u32_e32 vcc_lo, s12, v11
	v_add_nc_u32_e32 v12, 1, v10
	s_delay_alu instid0(VALU_DEP_1)
	v_cndmask_b32_e32 v12, v10, v12, vcc_lo
	s_branch .LBB2_16
.LBB2_33:                               ;   in Loop: Header=BB2_34 Depth=1
	s_or_b32 exec_lo, exec_lo, s0
	v_mul_u64_e32 v[12:13], s[14:15], v[4:5]
	v_mul_u64_e32 v[16:17], s[16:17], v[6:7]
	;; [unrolled: 1-line block ×9, first 2 shown]
	s_lshl_b64 s[48:49], s[40:41], 2
	v_add_nc_u64_e32 v[2:3], s[2:3], v[2:3]
	s_delay_alu instid0(VALU_DEP_1) | instskip(SKIP_3) | instid1(VALU_DEP_2)
	v_cmp_le_u64_e32 vcc_lo, s[46:47], v[2:3]
	s_or_b32 s33, vcc_lo, s33
	v_lshl_add_u64 v[12:13], v[12:13], 2, s[36:37]
	v_lshl_add_u64 v[4:5], v[4:5], 2, s[38:39]
	;; [unrolled: 1-line block ×3, first 2 shown]
	v_sub_nc_u64_e32 v[16:17], v[10:11], v[20:21]
	s_delay_alu instid0(VALU_DEP_3) | instskip(NEXT) | instid1(VALU_DEP_3)
	v_lshl_add_u64 v[4:5], v[6:7], 2, v[4:5]
	v_lshl_add_u64 v[12:13], v[18:19], 2, v[12:13]
	s_delay_alu instid0(VALU_DEP_2) | instskip(NEXT) | instid1(VALU_DEP_2)
	v_lshl_add_u64 v[4:5], v[8:9], 2, v[4:5]
	v_lshl_add_u64 v[10:11], v[22:23], 2, v[12:13]
	s_delay_alu instid0(VALU_DEP_2) | instskip(NEXT) | instid1(VALU_DEP_2)
	v_lshl_add_u64 v[4:5], v[14:15], 2, v[4:5]
	v_lshl_add_u64 v[10:11], v[16:17], 4, v[10:11]
	v_mul_u64_e32 v[16:17], s[40:41], v[16:17]
	global_load_b128 v[10:13], v[10:11], off
	v_lshl_add_u64 v[4:5], v[16:17], 4, v[4:5]
	s_delay_alu instid0(VALU_DEP_1) | instskip(NEXT) | instid1(VALU_DEP_1)
	v_add_nc_u64_e32 v[6:7], s[48:49], v[4:5]
	v_add_nc_u64_e32 v[8:9], s[48:49], v[6:7]
	s_delay_alu instid0(VALU_DEP_1)
	v_add_nc_u64_e32 v[14:15], s[48:49], v[8:9]
	s_wait_loadcnt 0x0
	s_clause 0x3
	global_store_b32 v[4:5], v10, off
	global_store_b32 v[6:7], v11, off
	;; [unrolled: 1-line block ×4, first 2 shown]
	s_wait_xcnt 0x0
	s_and_not1_b32 exec_lo, exec_lo, s33
	s_cbranch_execz .LBB2_11
.LBB2_34:                               ; =>This Inner Loop Header: Depth=1
	v_dual_mov_b32 v6, 0 :: v_dual_bitop2_b32 v7, s45, v3 bitop3:0x54
                                        ; implicit-def: $vgpr4_vgpr5
	s_mov_b32 s0, exec_lo
	s_delay_alu instid0(VALU_DEP_1)
	v_cmpx_ne_u64_e32 0, v[6:7]
	s_xor_b32 s48, exec_lo, s0
	s_cbranch_execz .LBB2_36
; %bb.35:                               ;   in Loop: Header=BB2_34 Depth=1
	s_cvt_f32_u32 s0, s44
	s_cvt_f32_u32 s49, s45
	s_sub_nc_u64 s[52:53], 0, s[44:45]
	s_mov_b32 s57, 0
	v_dual_mov_b32 v4, v2 :: v_dual_mov_b32 v5, v6
	s_fmamk_f32 s0, s49, 0x4f800000, s0
	v_dual_mov_b32 v8, v3 :: v_dual_mov_b32 v9, v6
	v_dual_mov_b32 v13, v6 :: v_dual_mov_b32 v7, v6
	s_delay_alu instid0(SALU_CYCLE_1) | instskip(NEXT) | instid1(TRANS32_DEP_1)
	v_s_rcp_f32 s0, s0
	s_mul_f32 s0, s0, 0x5f7ffffc
	s_delay_alu instid0(SALU_CYCLE_3) | instskip(NEXT) | instid1(SALU_CYCLE_3)
	s_mul_f32 s49, s0, 0x2f800000
	s_trunc_f32 s49, s49
	s_delay_alu instid0(SALU_CYCLE_3) | instskip(SKIP_1) | instid1(SALU_CYCLE_2)
	s_fmamk_f32 s0, s49, 0xcf800000, s0
	s_cvt_u32_f32 s51, s49
	s_cvt_u32_f32 s50, s0
	s_delay_alu instid0(SALU_CYCLE_3) | instskip(NEXT) | instid1(SALU_CYCLE_1)
	s_mul_u64 s[54:55], s[52:53], s[50:51]
	s_mul_hi_u32 s59, s50, s55
	s_mul_i32 s58, s50, s55
	s_mul_hi_u32 s56, s50, s54
	s_mul_i32 s49, s51, s54
	s_add_nc_u64 s[58:59], s[56:57], s[58:59]
	s_mul_hi_u32 s0, s51, s54
	s_mul_hi_u32 s60, s51, s55
	s_add_co_u32 s49, s58, s49
	s_add_co_ci_u32 s56, s59, s0
	s_mul_i32 s54, s51, s55
	s_add_co_ci_u32 s55, s60, 0
	s_delay_alu instid0(SALU_CYCLE_1) | instskip(NEXT) | instid1(SALU_CYCLE_1)
	s_add_nc_u64 s[54:55], s[56:57], s[54:55]
	s_add_co_u32 s50, s50, s54
	s_cselect_b32 s0, -1, 0
	s_delay_alu instid0(SALU_CYCLE_1) | instskip(SKIP_1) | instid1(SALU_CYCLE_1)
	s_cmp_lg_u32 s0, 0
	s_add_co_ci_u32 s51, s51, s55
	s_mul_u64 s[52:53], s[52:53], s[50:51]
	s_delay_alu instid0(SALU_CYCLE_1)
	s_mul_hi_u32 s55, s50, s53
	s_mul_i32 s54, s50, s53
	s_mul_hi_u32 s56, s50, s52
	s_mul_i32 s49, s51, s52
	s_add_nc_u64 s[54:55], s[56:57], s[54:55]
	s_mul_hi_u32 s0, s51, s52
	s_mul_hi_u32 s58, s51, s53
	s_add_co_u32 s49, s54, s49
	s_add_co_ci_u32 s56, s55, s0
	s_mul_i32 s52, s51, s53
	s_add_co_ci_u32 s53, s58, 0
	s_delay_alu instid0(SALU_CYCLE_1) | instskip(NEXT) | instid1(SALU_CYCLE_1)
	s_add_nc_u64 s[52:53], s[56:57], s[52:53]
	s_add_co_u32 s0, s50, s52
	s_cselect_b32 s49, -1, 0
	v_nop
	v_mul_hi_u32 v12, v2, s0
	s_cmp_lg_u32 s49, 0
	s_add_co_ci_u32 s56, s51, s53
	s_mov_b64 s[50:51], 0xffffffff
	v_mul_u64_e32 v[4:5], s[56:57], v[4:5]
	s_and_b64 s[50:51], s[0:1], s[50:51]
	s_delay_alu instid0(SALU_CYCLE_1) | instskip(SKIP_1) | instid1(VALU_DEP_3)
	v_mul_u64_e32 v[10:11], s[50:51], v[8:9]
	v_mul_u64_e32 v[8:9], s[56:57], v[8:9]
	v_add_nc_u64_e32 v[4:5], v[12:13], v[4:5]
	s_delay_alu instid0(VALU_DEP_1) | instskip(NEXT) | instid1(VALU_DEP_2)
	v_add_co_u32 v4, vcc_lo, v4, v10
	v_add_co_ci_u32_e32 v6, vcc_lo, v5, v11, vcc_lo
	s_delay_alu instid0(VALU_DEP_4) | instskip(NEXT) | instid1(VALU_DEP_1)
	v_add_co_ci_u32_e32 v9, vcc_lo, 0, v9, vcc_lo
	v_add_nc_u64_e32 v[4:5], v[6:7], v[8:9]
	s_delay_alu instid0(VALU_DEP_1) | instskip(NEXT) | instid1(VALU_DEP_1)
	v_mul_u64_e32 v[6:7], s[44:45], v[4:5]
	v_sub_nc_u32_e32 v8, v3, v7
	s_delay_alu instid0(VALU_DEP_2) | instskip(NEXT) | instid1(VALU_DEP_1)
	v_sub_co_u32 v6, vcc_lo, v2, v6
	v_sub_co_ci_u32_e64 v13, null, v3, v7, vcc_lo
	s_delay_alu instid0(VALU_DEP_3) | instskip(NEXT) | instid1(VALU_DEP_3)
	v_subrev_co_ci_u32_e64 v8, null, s45, v8, vcc_lo
	v_sub_co_u32 v10, s0, v6, s44
	v_cmp_le_u32_e32 vcc_lo, s44, v6
	s_delay_alu instid0(VALU_DEP_3) | instskip(NEXT) | instid1(VALU_DEP_3)
	v_subrev_co_ci_u32_e64 v11, null, 0, v8, s0
	v_cmp_le_u32_e64 s0, s44, v10
	v_add_nc_u64_e32 v[8:9], 2, v[4:5]
	v_cndmask_b32_e64 v14, 0, -1, vcc_lo
	s_delay_alu instid0(VALU_DEP_4) | instskip(SKIP_3) | instid1(VALU_DEP_1)
	v_cmp_eq_u32_e32 vcc_lo, s45, v11
	v_add_nc_u64_e32 v[6:7], 1, v[4:5]
	v_cndmask_b32_e64 v10, 0, -1, s0
	v_cmp_le_u32_e64 s0, s45, v11
	v_cndmask_b32_e64 v12, 0, -1, s0
	v_cmp_eq_u32_e64 s0, s45, v13
	s_delay_alu instid0(VALU_DEP_2) | instskip(SKIP_2) | instid1(VALU_DEP_3)
	v_cndmask_b32_e32 v10, v12, v10, vcc_lo
	v_cmp_le_u32_e32 vcc_lo, s45, v13
	v_cndmask_b32_e64 v11, 0, -1, vcc_lo
	v_cmp_ne_u32_e32 vcc_lo, 0, v10
	s_delay_alu instid0(VALU_DEP_2) | instskip(SKIP_1) | instid1(VALU_DEP_2)
	v_dual_cndmask_b32 v10, v11, v14, s0 :: v_dual_cndmask_b32 v6, v6, v8, vcc_lo
	v_cndmask_b32_e32 v7, v7, v9, vcc_lo
	v_cmp_ne_u32_e32 vcc_lo, 0, v10
	s_delay_alu instid0(VALU_DEP_2)
	v_dual_cndmask_b32 v4, v4, v6 :: v_dual_cndmask_b32 v5, v5, v7
.LBB2_36:                               ;   in Loop: Header=BB2_34 Depth=1
	s_and_not1_saveexec_b32 s0, s48
	s_cbranch_execz .LBB2_38
; %bb.37:                               ;   in Loop: Header=BB2_34 Depth=1
	v_cvt_f32_u32_e32 v4, s44
	s_sub_co_i32 s48, 0, s44
	s_delay_alu instid0(VALU_DEP_1) | instskip(SKIP_1) | instid1(TRANS32_DEP_1)
	v_rcp_iflag_f32_e32 v4, v4
	v_nop
	v_mul_f32_e32 v4, 0x4f7ffffe, v4
	s_delay_alu instid0(VALU_DEP_1) | instskip(NEXT) | instid1(VALU_DEP_1)
	v_cvt_u32_f32_e32 v4, v4
	v_mul_lo_u32 v5, s48, v4
	s_delay_alu instid0(VALU_DEP_1) | instskip(NEXT) | instid1(VALU_DEP_1)
	v_mul_hi_u32 v5, v4, v5
	v_add_nc_u32_e32 v4, v4, v5
	s_delay_alu instid0(VALU_DEP_1) | instskip(NEXT) | instid1(VALU_DEP_1)
	v_mul_hi_u32 v4, v2, v4
	v_mul_lo_u32 v5, v4, s44
	s_delay_alu instid0(VALU_DEP_1) | instskip(NEXT) | instid1(VALU_DEP_1)
	v_dual_add_nc_u32 v6, 1, v4 :: v_dual_sub_nc_u32 v5, v2, v5
	v_subrev_nc_u32_e32 v7, s44, v5
	v_cmp_le_u32_e32 vcc_lo, s44, v5
	s_delay_alu instid0(VALU_DEP_2) | instskip(NEXT) | instid1(VALU_DEP_1)
	v_dual_cndmask_b32 v5, v5, v7 :: v_dual_cndmask_b32 v4, v4, v6
	v_cmp_le_u32_e32 vcc_lo, s44, v5
	s_delay_alu instid0(VALU_DEP_2) | instskip(NEXT) | instid1(VALU_DEP_1)
	v_dual_mov_b32 v5, 0 :: v_dual_add_nc_u32 v6, 1, v4
	v_cndmask_b32_e32 v4, v4, v6, vcc_lo
.LBB2_38:                               ;   in Loop: Header=BB2_34 Depth=1
	s_or_b32 exec_lo, exec_lo, s0
	s_delay_alu instid0(VALU_DEP_1) | instskip(SKIP_2) | instid1(VALU_DEP_2)
	v_mul_u64_e32 v[6:7], s[44:45], v[4:5]
	s_mov_b32 s0, exec_lo
	v_mov_b32_e32 v10, 0
	v_sub_nc_u64_e32 v[8:9], v[2:3], v[6:7]
                                        ; implicit-def: $vgpr6_vgpr7
	s_delay_alu instid0(VALU_DEP_1) | instskip(NEXT) | instid1(VALU_DEP_1)
	v_or_b32_e32 v11, s43, v9
	v_cmpx_ne_u64_e32 0, v[10:11]
	s_xor_b32 s48, exec_lo, s0
	s_cbranch_execz .LBB2_40
; %bb.39:                               ;   in Loop: Header=BB2_34 Depth=1
	s_cvt_f32_u32 s0, s42
	s_cvt_f32_u32 s49, s43
	s_sub_nc_u64 s[52:53], 0, s[42:43]
	s_mov_b32 s57, 0
	v_dual_mov_b32 v6, v8 :: v_dual_mov_b32 v7, v10
	s_fmamk_f32 s0, s49, 0x4f800000, s0
	v_dual_mov_b32 v12, v9 :: v_dual_mov_b32 v13, v10
	v_dual_mov_b32 v17, v10 :: v_dual_mov_b32 v11, v10
	s_delay_alu instid0(SALU_CYCLE_1) | instskip(NEXT) | instid1(TRANS32_DEP_1)
	v_s_rcp_f32 s0, s0
	s_mul_f32 s0, s0, 0x5f7ffffc
	s_delay_alu instid0(SALU_CYCLE_3) | instskip(NEXT) | instid1(SALU_CYCLE_3)
	s_mul_f32 s49, s0, 0x2f800000
	s_trunc_f32 s49, s49
	s_delay_alu instid0(SALU_CYCLE_3) | instskip(SKIP_1) | instid1(SALU_CYCLE_2)
	s_fmamk_f32 s0, s49, 0xcf800000, s0
	s_cvt_u32_f32 s51, s49
	s_cvt_u32_f32 s50, s0
	s_delay_alu instid0(SALU_CYCLE_3) | instskip(NEXT) | instid1(SALU_CYCLE_1)
	s_mul_u64 s[54:55], s[52:53], s[50:51]
	s_mul_hi_u32 s59, s50, s55
	s_mul_i32 s58, s50, s55
	s_mul_hi_u32 s56, s50, s54
	s_mul_i32 s49, s51, s54
	s_add_nc_u64 s[58:59], s[56:57], s[58:59]
	s_mul_hi_u32 s0, s51, s54
	s_mul_hi_u32 s60, s51, s55
	s_add_co_u32 s49, s58, s49
	s_add_co_ci_u32 s56, s59, s0
	s_mul_i32 s54, s51, s55
	s_add_co_ci_u32 s55, s60, 0
	s_delay_alu instid0(SALU_CYCLE_1) | instskip(NEXT) | instid1(SALU_CYCLE_1)
	s_add_nc_u64 s[54:55], s[56:57], s[54:55]
	s_add_co_u32 s50, s50, s54
	s_cselect_b32 s0, -1, 0
	s_delay_alu instid0(SALU_CYCLE_1) | instskip(SKIP_1) | instid1(SALU_CYCLE_1)
	s_cmp_lg_u32 s0, 0
	s_add_co_ci_u32 s51, s51, s55
	s_mul_u64 s[52:53], s[52:53], s[50:51]
	s_delay_alu instid0(SALU_CYCLE_1)
	s_mul_hi_u32 s55, s50, s53
	s_mul_i32 s54, s50, s53
	s_mul_hi_u32 s56, s50, s52
	s_mul_i32 s49, s51, s52
	s_add_nc_u64 s[54:55], s[56:57], s[54:55]
	s_mul_hi_u32 s0, s51, s52
	s_mul_hi_u32 s58, s51, s53
	s_add_co_u32 s49, s54, s49
	s_add_co_ci_u32 s56, s55, s0
	s_mul_i32 s52, s51, s53
	s_add_co_ci_u32 s53, s58, 0
	s_delay_alu instid0(SALU_CYCLE_1) | instskip(NEXT) | instid1(SALU_CYCLE_1)
	s_add_nc_u64 s[52:53], s[56:57], s[52:53]
	s_add_co_u32 s0, s50, s52
	s_cselect_b32 s49, -1, 0
	v_nop
	v_mul_hi_u32 v16, v8, s0
	s_cmp_lg_u32 s49, 0
	s_add_co_ci_u32 s56, s51, s53
	s_mov_b64 s[50:51], 0xffffffff
	v_mul_u64_e32 v[6:7], s[56:57], v[6:7]
	s_and_b64 s[50:51], s[0:1], s[50:51]
	s_delay_alu instid0(SALU_CYCLE_1) | instskip(SKIP_1) | instid1(VALU_DEP_3)
	v_mul_u64_e32 v[14:15], s[50:51], v[12:13]
	v_mul_u64_e32 v[12:13], s[56:57], v[12:13]
	v_add_nc_u64_e32 v[6:7], v[16:17], v[6:7]
	s_delay_alu instid0(VALU_DEP_1) | instskip(NEXT) | instid1(VALU_DEP_2)
	v_add_co_u32 v6, vcc_lo, v6, v14
	v_add_co_ci_u32_e32 v10, vcc_lo, v7, v15, vcc_lo
	s_delay_alu instid0(VALU_DEP_4) | instskip(NEXT) | instid1(VALU_DEP_1)
	v_add_co_ci_u32_e32 v13, vcc_lo, 0, v13, vcc_lo
	v_add_nc_u64_e32 v[6:7], v[10:11], v[12:13]
	s_delay_alu instid0(VALU_DEP_1) | instskip(NEXT) | instid1(VALU_DEP_1)
	v_mul_u64_e32 v[10:11], s[42:43], v[6:7]
	v_sub_nc_u32_e32 v12, v9, v11
	s_delay_alu instid0(VALU_DEP_2) | instskip(NEXT) | instid1(VALU_DEP_1)
	v_sub_co_u32 v10, vcc_lo, v8, v10
	v_sub_co_ci_u32_e64 v17, null, v9, v11, vcc_lo
	s_delay_alu instid0(VALU_DEP_3) | instskip(NEXT) | instid1(VALU_DEP_3)
	v_subrev_co_ci_u32_e64 v12, null, s43, v12, vcc_lo
	v_sub_co_u32 v14, s0, v10, s42
	v_cmp_le_u32_e32 vcc_lo, s42, v10
	s_delay_alu instid0(VALU_DEP_3) | instskip(NEXT) | instid1(VALU_DEP_3)
	v_subrev_co_ci_u32_e64 v15, null, 0, v12, s0
	v_cmp_le_u32_e64 s0, s42, v14
	v_add_nc_u64_e32 v[12:13], 2, v[6:7]
	v_cndmask_b32_e64 v18, 0, -1, vcc_lo
	s_delay_alu instid0(VALU_DEP_4) | instskip(SKIP_3) | instid1(VALU_DEP_1)
	v_cmp_eq_u32_e32 vcc_lo, s43, v15
	v_add_nc_u64_e32 v[10:11], 1, v[6:7]
	v_cndmask_b32_e64 v14, 0, -1, s0
	v_cmp_le_u32_e64 s0, s43, v15
	v_cndmask_b32_e64 v16, 0, -1, s0
	v_cmp_eq_u32_e64 s0, s43, v17
	s_delay_alu instid0(VALU_DEP_2) | instskip(SKIP_2) | instid1(VALU_DEP_3)
	v_cndmask_b32_e32 v14, v16, v14, vcc_lo
	v_cmp_le_u32_e32 vcc_lo, s43, v17
	v_cndmask_b32_e64 v15, 0, -1, vcc_lo
	v_cmp_ne_u32_e32 vcc_lo, 0, v14
	s_delay_alu instid0(VALU_DEP_2) | instskip(SKIP_1) | instid1(VALU_DEP_2)
	v_dual_cndmask_b32 v14, v15, v18, s0 :: v_dual_cndmask_b32 v10, v10, v12, vcc_lo
	v_cndmask_b32_e32 v11, v11, v13, vcc_lo
	v_cmp_ne_u32_e32 vcc_lo, 0, v14
	s_delay_alu instid0(VALU_DEP_2)
	v_dual_cndmask_b32 v6, v6, v10 :: v_dual_cndmask_b32 v7, v7, v11
.LBB2_40:                               ;   in Loop: Header=BB2_34 Depth=1
	s_and_not1_saveexec_b32 s0, s48
	s_cbranch_execz .LBB2_42
; %bb.41:                               ;   in Loop: Header=BB2_34 Depth=1
	v_cvt_f32_u32_e32 v6, s42
	s_sub_co_i32 s48, 0, s42
	s_delay_alu instid0(VALU_DEP_1) | instskip(SKIP_1) | instid1(TRANS32_DEP_1)
	v_rcp_iflag_f32_e32 v6, v6
	v_nop
	v_mul_f32_e32 v6, 0x4f7ffffe, v6
	s_delay_alu instid0(VALU_DEP_1) | instskip(NEXT) | instid1(VALU_DEP_1)
	v_cvt_u32_f32_e32 v6, v6
	v_mul_lo_u32 v7, s48, v6
	s_delay_alu instid0(VALU_DEP_1) | instskip(NEXT) | instid1(VALU_DEP_1)
	v_mul_hi_u32 v7, v6, v7
	v_add_nc_u32_e32 v6, v6, v7
	s_delay_alu instid0(VALU_DEP_1) | instskip(NEXT) | instid1(VALU_DEP_1)
	v_mul_hi_u32 v6, v8, v6
	v_mul_lo_u32 v7, v6, s42
	s_delay_alu instid0(VALU_DEP_1) | instskip(NEXT) | instid1(VALU_DEP_1)
	v_sub_nc_u32_e32 v7, v8, v7
	v_subrev_nc_u32_e32 v11, s42, v7
	v_cmp_le_u32_e32 vcc_lo, s42, v7
	s_delay_alu instid0(VALU_DEP_2) | instskip(NEXT) | instid1(VALU_DEP_1)
	v_dual_cndmask_b32 v7, v7, v11 :: v_dual_add_nc_u32 v10, 1, v6
	v_cndmask_b32_e32 v6, v6, v10, vcc_lo
	s_delay_alu instid0(VALU_DEP_2) | instskip(NEXT) | instid1(VALU_DEP_2)
	v_cmp_le_u32_e32 vcc_lo, s42, v7
	v_dual_mov_b32 v7, 0 :: v_dual_add_nc_u32 v10, 1, v6
	s_delay_alu instid0(VALU_DEP_1)
	v_cndmask_b32_e32 v6, v6, v10, vcc_lo
.LBB2_42:                               ;   in Loop: Header=BB2_34 Depth=1
	s_or_b32 exec_lo, exec_lo, s0
	s_delay_alu instid0(VALU_DEP_1) | instskip(SKIP_2) | instid1(VALU_DEP_2)
	v_mul_u64_e32 v[10:11], s[42:43], v[6:7]
	s_mov_b32 s0, exec_lo
	v_mov_b32_e32 v12, 0
	v_sub_nc_u64_e32 v[10:11], v[8:9], v[10:11]
                                        ; implicit-def: $vgpr8_vgpr9
	s_delay_alu instid0(VALU_DEP_1) | instskip(NEXT) | instid1(VALU_DEP_1)
	v_or_b32_e32 v13, s35, v11
	v_cmpx_ne_u64_e32 0, v[12:13]
	s_xor_b32 s48, exec_lo, s0
	s_cbranch_execz .LBB2_44
; %bb.43:                               ;   in Loop: Header=BB2_34 Depth=1
	s_cvt_f32_u32 s0, s34
	s_cvt_f32_u32 s49, s35
	s_sub_nc_u64 s[52:53], 0, s[34:35]
	s_mov_b32 s57, 0
	v_dual_mov_b32 v8, v10 :: v_dual_mov_b32 v9, v12
	s_fmamk_f32 s0, s49, 0x4f800000, s0
	v_dual_mov_b32 v14, v11 :: v_dual_mov_b32 v15, v12
	v_dual_mov_b32 v19, v12 :: v_dual_mov_b32 v13, v12
	s_delay_alu instid0(SALU_CYCLE_1) | instskip(NEXT) | instid1(TRANS32_DEP_1)
	v_s_rcp_f32 s0, s0
	s_mul_f32 s0, s0, 0x5f7ffffc
	s_delay_alu instid0(SALU_CYCLE_3) | instskip(NEXT) | instid1(SALU_CYCLE_3)
	s_mul_f32 s49, s0, 0x2f800000
	s_trunc_f32 s49, s49
	s_delay_alu instid0(SALU_CYCLE_3) | instskip(SKIP_1) | instid1(SALU_CYCLE_2)
	s_fmamk_f32 s0, s49, 0xcf800000, s0
	s_cvt_u32_f32 s51, s49
	s_cvt_u32_f32 s50, s0
	s_delay_alu instid0(SALU_CYCLE_3) | instskip(NEXT) | instid1(SALU_CYCLE_1)
	s_mul_u64 s[54:55], s[52:53], s[50:51]
	s_mul_hi_u32 s59, s50, s55
	s_mul_i32 s58, s50, s55
	s_mul_hi_u32 s56, s50, s54
	s_mul_i32 s49, s51, s54
	s_add_nc_u64 s[58:59], s[56:57], s[58:59]
	s_mul_hi_u32 s0, s51, s54
	s_mul_hi_u32 s60, s51, s55
	s_add_co_u32 s49, s58, s49
	s_add_co_ci_u32 s56, s59, s0
	s_mul_i32 s54, s51, s55
	s_add_co_ci_u32 s55, s60, 0
	s_delay_alu instid0(SALU_CYCLE_1) | instskip(NEXT) | instid1(SALU_CYCLE_1)
	s_add_nc_u64 s[54:55], s[56:57], s[54:55]
	s_add_co_u32 s50, s50, s54
	s_cselect_b32 s0, -1, 0
	s_delay_alu instid0(SALU_CYCLE_1) | instskip(SKIP_1) | instid1(SALU_CYCLE_1)
	s_cmp_lg_u32 s0, 0
	s_add_co_ci_u32 s51, s51, s55
	s_mul_u64 s[52:53], s[52:53], s[50:51]
	s_delay_alu instid0(SALU_CYCLE_1)
	s_mul_hi_u32 s55, s50, s53
	s_mul_i32 s54, s50, s53
	s_mul_hi_u32 s56, s50, s52
	s_mul_i32 s49, s51, s52
	s_add_nc_u64 s[54:55], s[56:57], s[54:55]
	s_mul_hi_u32 s0, s51, s52
	s_mul_hi_u32 s58, s51, s53
	s_add_co_u32 s49, s54, s49
	s_add_co_ci_u32 s56, s55, s0
	s_mul_i32 s52, s51, s53
	s_add_co_ci_u32 s53, s58, 0
	s_delay_alu instid0(SALU_CYCLE_1) | instskip(NEXT) | instid1(SALU_CYCLE_1)
	s_add_nc_u64 s[52:53], s[56:57], s[52:53]
	s_add_co_u32 s0, s50, s52
	s_cselect_b32 s49, -1, 0
	v_nop
	v_mul_hi_u32 v18, v10, s0
	s_cmp_lg_u32 s49, 0
	s_add_co_ci_u32 s56, s51, s53
	s_mov_b64 s[50:51], 0xffffffff
	v_mul_u64_e32 v[8:9], s[56:57], v[8:9]
	s_and_b64 s[50:51], s[0:1], s[50:51]
	s_delay_alu instid0(SALU_CYCLE_1) | instskip(SKIP_1) | instid1(VALU_DEP_3)
	v_mul_u64_e32 v[16:17], s[50:51], v[14:15]
	v_mul_u64_e32 v[14:15], s[56:57], v[14:15]
	v_add_nc_u64_e32 v[8:9], v[18:19], v[8:9]
	s_delay_alu instid0(VALU_DEP_1) | instskip(NEXT) | instid1(VALU_DEP_2)
	v_add_co_u32 v8, vcc_lo, v8, v16
	v_add_co_ci_u32_e32 v12, vcc_lo, v9, v17, vcc_lo
	s_delay_alu instid0(VALU_DEP_4) | instskip(NEXT) | instid1(VALU_DEP_1)
	v_add_co_ci_u32_e32 v15, vcc_lo, 0, v15, vcc_lo
	v_add_nc_u64_e32 v[8:9], v[12:13], v[14:15]
	s_delay_alu instid0(VALU_DEP_1) | instskip(NEXT) | instid1(VALU_DEP_1)
	v_mul_u64_e32 v[12:13], s[34:35], v[8:9]
	v_sub_nc_u32_e32 v14, v11, v13
	s_delay_alu instid0(VALU_DEP_2) | instskip(NEXT) | instid1(VALU_DEP_1)
	v_sub_co_u32 v12, vcc_lo, v10, v12
	v_sub_co_ci_u32_e64 v19, null, v11, v13, vcc_lo
	s_delay_alu instid0(VALU_DEP_3) | instskip(NEXT) | instid1(VALU_DEP_3)
	v_subrev_co_ci_u32_e64 v14, null, s35, v14, vcc_lo
	v_sub_co_u32 v16, s0, v12, s34
	v_cmp_le_u32_e32 vcc_lo, s34, v12
	s_delay_alu instid0(VALU_DEP_3) | instskip(NEXT) | instid1(VALU_DEP_3)
	v_subrev_co_ci_u32_e64 v17, null, 0, v14, s0
	v_cmp_le_u32_e64 s0, s34, v16
	v_add_nc_u64_e32 v[14:15], 2, v[8:9]
	v_cndmask_b32_e64 v20, 0, -1, vcc_lo
	s_delay_alu instid0(VALU_DEP_4) | instskip(SKIP_3) | instid1(VALU_DEP_1)
	v_cmp_eq_u32_e32 vcc_lo, s35, v17
	v_add_nc_u64_e32 v[12:13], 1, v[8:9]
	v_cndmask_b32_e64 v16, 0, -1, s0
	v_cmp_le_u32_e64 s0, s35, v17
	v_cndmask_b32_e64 v18, 0, -1, s0
	v_cmp_eq_u32_e64 s0, s35, v19
	s_delay_alu instid0(VALU_DEP_2) | instskip(SKIP_2) | instid1(VALU_DEP_3)
	v_cndmask_b32_e32 v16, v18, v16, vcc_lo
	v_cmp_le_u32_e32 vcc_lo, s35, v19
	v_cndmask_b32_e64 v17, 0, -1, vcc_lo
	v_cmp_ne_u32_e32 vcc_lo, 0, v16
	s_delay_alu instid0(VALU_DEP_2) | instskip(SKIP_1) | instid1(VALU_DEP_2)
	v_dual_cndmask_b32 v16, v17, v20, s0 :: v_dual_cndmask_b32 v12, v12, v14, vcc_lo
	v_cndmask_b32_e32 v13, v13, v15, vcc_lo
	v_cmp_ne_u32_e32 vcc_lo, 0, v16
	s_delay_alu instid0(VALU_DEP_2)
	v_dual_cndmask_b32 v8, v8, v12 :: v_dual_cndmask_b32 v9, v9, v13
.LBB2_44:                               ;   in Loop: Header=BB2_34 Depth=1
	s_and_not1_saveexec_b32 s0, s48
	s_cbranch_execz .LBB2_46
; %bb.45:                               ;   in Loop: Header=BB2_34 Depth=1
	v_cvt_f32_u32_e32 v8, s34
	s_sub_co_i32 s48, 0, s34
	s_delay_alu instid0(VALU_DEP_1) | instskip(SKIP_1) | instid1(TRANS32_DEP_1)
	v_rcp_iflag_f32_e32 v8, v8
	v_nop
	v_mul_f32_e32 v8, 0x4f7ffffe, v8
	s_delay_alu instid0(VALU_DEP_1) | instskip(NEXT) | instid1(VALU_DEP_1)
	v_cvt_u32_f32_e32 v8, v8
	v_mul_lo_u32 v9, s48, v8
	s_delay_alu instid0(VALU_DEP_1) | instskip(NEXT) | instid1(VALU_DEP_1)
	v_mul_hi_u32 v9, v8, v9
	v_add_nc_u32_e32 v8, v8, v9
	s_delay_alu instid0(VALU_DEP_1) | instskip(NEXT) | instid1(VALU_DEP_1)
	v_mul_hi_u32 v8, v10, v8
	v_mul_lo_u32 v9, v8, s34
	s_delay_alu instid0(VALU_DEP_1) | instskip(NEXT) | instid1(VALU_DEP_1)
	v_sub_nc_u32_e32 v9, v10, v9
	v_subrev_nc_u32_e32 v13, s34, v9
	v_cmp_le_u32_e32 vcc_lo, s34, v9
	s_delay_alu instid0(VALU_DEP_2) | instskip(NEXT) | instid1(VALU_DEP_1)
	v_dual_cndmask_b32 v9, v9, v13 :: v_dual_add_nc_u32 v12, 1, v8
	v_cndmask_b32_e32 v8, v8, v12, vcc_lo
	s_delay_alu instid0(VALU_DEP_2) | instskip(NEXT) | instid1(VALU_DEP_2)
	v_cmp_le_u32_e32 vcc_lo, s34, v9
	v_dual_mov_b32 v9, 0 :: v_dual_add_nc_u32 v12, 1, v8
	s_delay_alu instid0(VALU_DEP_1)
	v_cndmask_b32_e32 v8, v8, v12, vcc_lo
.LBB2_46:                               ;   in Loop: Header=BB2_34 Depth=1
	s_or_b32 exec_lo, exec_lo, s0
	s_delay_alu instid0(VALU_DEP_1) | instskip(SKIP_1) | instid1(VALU_DEP_1)
	v_mul_u64_e32 v[12:13], s[34:35], v[8:9]
                                        ; implicit-def: $vgpr14_vgpr15
	s_mov_b32 s0, exec_lo
	v_sub_nc_u64_e32 v[10:11], v[10:11], v[12:13]
	s_delay_alu instid0(VALU_DEP_1) | instskip(NEXT) | instid1(VALU_DEP_1)
	v_dual_mov_b32 v12, 0 :: v_dual_bitop2_b32 v13, s23, v11 bitop3:0x54
	v_cmpx_ne_u64_e32 0, v[12:13]
	s_xor_b32 s48, exec_lo, s0
	s_cbranch_execz .LBB2_48
; %bb.47:                               ;   in Loop: Header=BB2_34 Depth=1
	s_cvt_f32_u32 s0, s22
	s_cvt_f32_u32 s49, s23
	s_sub_nc_u64 s[52:53], 0, s[22:23]
	s_mov_b32 s57, 0
	v_dual_mov_b32 v14, v10 :: v_dual_mov_b32 v15, v12
	s_fmamk_f32 s0, s49, 0x4f800000, s0
	v_dual_mov_b32 v16, v11 :: v_dual_mov_b32 v17, v12
	v_dual_mov_b32 v21, v12 :: v_dual_mov_b32 v13, v12
	s_delay_alu instid0(SALU_CYCLE_1) | instskip(NEXT) | instid1(TRANS32_DEP_1)
	v_s_rcp_f32 s0, s0
	s_mul_f32 s0, s0, 0x5f7ffffc
	s_delay_alu instid0(SALU_CYCLE_3) | instskip(NEXT) | instid1(SALU_CYCLE_3)
	s_mul_f32 s49, s0, 0x2f800000
	s_trunc_f32 s49, s49
	s_delay_alu instid0(SALU_CYCLE_3) | instskip(SKIP_1) | instid1(SALU_CYCLE_2)
	s_fmamk_f32 s0, s49, 0xcf800000, s0
	s_cvt_u32_f32 s51, s49
	s_cvt_u32_f32 s50, s0
	s_delay_alu instid0(SALU_CYCLE_3) | instskip(NEXT) | instid1(SALU_CYCLE_1)
	s_mul_u64 s[54:55], s[52:53], s[50:51]
	s_mul_hi_u32 s59, s50, s55
	s_mul_i32 s58, s50, s55
	s_mul_hi_u32 s56, s50, s54
	s_mul_i32 s49, s51, s54
	s_add_nc_u64 s[58:59], s[56:57], s[58:59]
	s_mul_hi_u32 s0, s51, s54
	s_mul_hi_u32 s60, s51, s55
	s_add_co_u32 s49, s58, s49
	s_add_co_ci_u32 s56, s59, s0
	s_mul_i32 s54, s51, s55
	s_add_co_ci_u32 s55, s60, 0
	s_delay_alu instid0(SALU_CYCLE_1) | instskip(NEXT) | instid1(SALU_CYCLE_1)
	s_add_nc_u64 s[54:55], s[56:57], s[54:55]
	s_add_co_u32 s50, s50, s54
	s_cselect_b32 s0, -1, 0
	s_delay_alu instid0(SALU_CYCLE_1) | instskip(SKIP_1) | instid1(SALU_CYCLE_1)
	s_cmp_lg_u32 s0, 0
	s_add_co_ci_u32 s51, s51, s55
	s_mul_u64 s[52:53], s[52:53], s[50:51]
	s_delay_alu instid0(SALU_CYCLE_1)
	s_mul_hi_u32 s55, s50, s53
	s_mul_i32 s54, s50, s53
	s_mul_hi_u32 s56, s50, s52
	s_mul_i32 s49, s51, s52
	s_add_nc_u64 s[54:55], s[56:57], s[54:55]
	s_mul_hi_u32 s0, s51, s52
	s_mul_hi_u32 s58, s51, s53
	s_add_co_u32 s49, s54, s49
	s_add_co_ci_u32 s56, s55, s0
	s_mul_i32 s52, s51, s53
	s_add_co_ci_u32 s53, s58, 0
	s_delay_alu instid0(SALU_CYCLE_1) | instskip(NEXT) | instid1(SALU_CYCLE_1)
	s_add_nc_u64 s[52:53], s[56:57], s[52:53]
	s_add_co_u32 s0, s50, s52
	s_cselect_b32 s49, -1, 0
	v_nop
	v_mul_hi_u32 v20, v10, s0
	s_cmp_lg_u32 s49, 0
	s_add_co_ci_u32 s56, s51, s53
	s_mov_b64 s[50:51], 0xffffffff
	v_mul_u64_e32 v[14:15], s[56:57], v[14:15]
	s_and_b64 s[50:51], s[0:1], s[50:51]
	s_delay_alu instid0(SALU_CYCLE_1) | instskip(SKIP_1) | instid1(VALU_DEP_3)
	v_mul_u64_e32 v[18:19], s[50:51], v[16:17]
	v_mul_u64_e32 v[16:17], s[56:57], v[16:17]
	v_add_nc_u64_e32 v[14:15], v[20:21], v[14:15]
	s_delay_alu instid0(VALU_DEP_1) | instskip(NEXT) | instid1(VALU_DEP_2)
	v_add_co_u32 v12, vcc_lo, v14, v18
	v_add_co_ci_u32_e32 v12, vcc_lo, v15, v19, vcc_lo
	s_delay_alu instid0(VALU_DEP_4) | instskip(NEXT) | instid1(VALU_DEP_1)
	v_add_co_ci_u32_e32 v17, vcc_lo, 0, v17, vcc_lo
	v_add_nc_u64_e32 v[12:13], v[12:13], v[16:17]
	s_delay_alu instid0(VALU_DEP_1) | instskip(NEXT) | instid1(VALU_DEP_1)
	v_mul_u64_e32 v[14:15], s[22:23], v[12:13]
	v_sub_nc_u32_e32 v16, v11, v15
	s_delay_alu instid0(VALU_DEP_2) | instskip(NEXT) | instid1(VALU_DEP_1)
	v_sub_co_u32 v14, vcc_lo, v10, v14
	v_sub_co_ci_u32_e64 v21, null, v11, v15, vcc_lo
	s_delay_alu instid0(VALU_DEP_3) | instskip(NEXT) | instid1(VALU_DEP_3)
	v_subrev_co_ci_u32_e64 v16, null, s23, v16, vcc_lo
	v_sub_co_u32 v18, s0, v14, s22
	v_cmp_le_u32_e32 vcc_lo, s22, v14
	s_delay_alu instid0(VALU_DEP_3) | instskip(NEXT) | instid1(VALU_DEP_3)
	v_subrev_co_ci_u32_e64 v19, null, 0, v16, s0
	v_cmp_le_u32_e64 s0, s22, v18
	v_add_nc_u64_e32 v[16:17], 2, v[12:13]
	v_cndmask_b32_e64 v22, 0, -1, vcc_lo
	s_delay_alu instid0(VALU_DEP_4) | instskip(SKIP_3) | instid1(VALU_DEP_1)
	v_cmp_eq_u32_e32 vcc_lo, s23, v19
	v_add_nc_u64_e32 v[14:15], 1, v[12:13]
	v_cndmask_b32_e64 v18, 0, -1, s0
	v_cmp_le_u32_e64 s0, s23, v19
	v_cndmask_b32_e64 v20, 0, -1, s0
	v_cmp_eq_u32_e64 s0, s23, v21
	s_delay_alu instid0(VALU_DEP_2) | instskip(SKIP_2) | instid1(VALU_DEP_3)
	v_cndmask_b32_e32 v18, v20, v18, vcc_lo
	v_cmp_le_u32_e32 vcc_lo, s23, v21
	v_cndmask_b32_e64 v19, 0, -1, vcc_lo
	v_cmp_ne_u32_e32 vcc_lo, 0, v18
	s_delay_alu instid0(VALU_DEP_2) | instskip(SKIP_1) | instid1(VALU_DEP_2)
	v_dual_cndmask_b32 v18, v19, v22, s0 :: v_dual_cndmask_b32 v14, v14, v16, vcc_lo
	v_cndmask_b32_e32 v15, v15, v17, vcc_lo
	v_cmp_ne_u32_e32 vcc_lo, 0, v18
	s_delay_alu instid0(VALU_DEP_2)
	v_dual_cndmask_b32 v14, v12, v14 :: v_dual_cndmask_b32 v15, v13, v15
.LBB2_48:                               ;   in Loop: Header=BB2_34 Depth=1
	s_and_not1_saveexec_b32 s0, s48
	s_cbranch_execz .LBB2_33
; %bb.49:                               ;   in Loop: Header=BB2_34 Depth=1
	v_cvt_f32_u32_e32 v12, s22
	s_sub_co_i32 s48, 0, s22
	s_delay_alu instid0(VALU_DEP_1) | instskip(SKIP_1) | instid1(TRANS32_DEP_1)
	v_rcp_iflag_f32_e32 v12, v12
	v_nop
	v_mul_f32_e32 v12, 0x4f7ffffe, v12
	s_delay_alu instid0(VALU_DEP_1) | instskip(NEXT) | instid1(VALU_DEP_1)
	v_cvt_u32_f32_e32 v12, v12
	v_mul_lo_u32 v13, s48, v12
	s_delay_alu instid0(VALU_DEP_1) | instskip(NEXT) | instid1(VALU_DEP_1)
	v_mul_hi_u32 v13, v12, v13
	v_add_nc_u32_e32 v12, v12, v13
	s_delay_alu instid0(VALU_DEP_1) | instskip(NEXT) | instid1(VALU_DEP_1)
	v_mul_hi_u32 v12, v10, v12
	v_mul_lo_u32 v13, v12, s22
	s_delay_alu instid0(VALU_DEP_1) | instskip(NEXT) | instid1(VALU_DEP_1)
	v_dual_add_nc_u32 v14, 1, v12 :: v_dual_sub_nc_u32 v13, v10, v13
	v_subrev_nc_u32_e32 v15, s22, v13
	v_cmp_le_u32_e32 vcc_lo, s22, v13
	s_delay_alu instid0(VALU_DEP_2) | instskip(NEXT) | instid1(VALU_DEP_4)
	v_dual_cndmask_b32 v13, v13, v15, vcc_lo :: v_dual_mov_b32 v15, 0
	v_cndmask_b32_e32 v12, v12, v14, vcc_lo
	s_delay_alu instid0(VALU_DEP_2) | instskip(NEXT) | instid1(VALU_DEP_2)
	v_cmp_le_u32_e32 vcc_lo, s22, v13
	v_add_nc_u32_e32 v14, 1, v12
	s_delay_alu instid0(VALU_DEP_1)
	v_cndmask_b32_e32 v14, v12, v14, vcc_lo
	s_branch .LBB2_33
.LBB2_50:                               ;   in Loop: Header=BB2_51 Depth=1
	s_or_b32 exec_lo, exec_lo, s0
	s_delay_alu instid0(VALU_DEP_1)
	v_mul_u64_e32 v[12:13], s[12:13], v[14:15]
	v_mul_u64_e32 v[16:17], s[14:15], v[4:5]
	;; [unrolled: 1-line block ×7, first 2 shown]
	v_add_nc_u64_e32 v[2:3], s[2:3], v[2:3]
	s_delay_alu instid0(VALU_DEP_1)
	v_cmp_le_u64_e32 vcc_lo, s[46:47], v[2:3]
	s_or_b32 s33, vcc_lo, s33
	v_sub_nc_u64_e32 v[10:11], v[10:11], v[12:13]
	v_mul_u64_e32 v[12:13], s[20:21], v[14:15]
	v_lshl_add_u64 v[16:17], v[16:17], 2, s[36:37]
	v_lshl_add_u64 v[4:5], v[4:5], 2, s[38:39]
	s_delay_alu instid0(VALU_DEP_2) | instskip(SKIP_2) | instid1(VALU_DEP_4)
	v_lshl_add_u64 v[16:17], v[18:19], 2, v[16:17]
	v_mul_u64_e32 v[22:23], s[22:23], v[10:11]
	v_mul_u64_e32 v[10:11], s[40:41], v[10:11]
	v_lshl_add_u64 v[4:5], v[6:7], 2, v[4:5]
	s_delay_alu instid0(VALU_DEP_4) | instskip(NEXT) | instid1(VALU_DEP_2)
	v_lshl_add_u64 v[16:17], v[20:21], 2, v[16:17]
	v_lshl_add_u64 v[4:5], v[8:9], 2, v[4:5]
	s_delay_alu instid0(VALU_DEP_2) | instskip(NEXT) | instid1(VALU_DEP_1)
	v_lshl_add_u64 v[12:13], v[12:13], 2, v[16:17]
	v_lshl_add_u64 v[12:13], v[22:23], 2, v[12:13]
	global_load_b32 v16, v[12:13], off
	s_wait_xcnt 0x0
	v_mul_u64_e32 v[12:13], s[30:31], v[14:15]
	s_delay_alu instid0(VALU_DEP_1) | instskip(NEXT) | instid1(VALU_DEP_1)
	v_lshl_add_u64 v[4:5], v[12:13], 2, v[4:5]
	v_lshl_add_u64 v[4:5], v[10:11], 2, v[4:5]
	s_wait_loadcnt 0x0
	global_store_b32 v[4:5], v16, off
	s_wait_xcnt 0x0
	s_and_not1_b32 exec_lo, exec_lo, s33
	s_cbranch_execz .LBB2_4
.LBB2_51:                               ; =>This Inner Loop Header: Depth=1
	v_dual_mov_b32 v6, 0 :: v_dual_bitop2_b32 v7, s45, v3 bitop3:0x54
                                        ; implicit-def: $vgpr4_vgpr5
	s_mov_b32 s0, exec_lo
	s_delay_alu instid0(VALU_DEP_1)
	v_cmpx_ne_u64_e32 0, v[6:7]
	s_xor_b32 s48, exec_lo, s0
	s_cbranch_execz .LBB2_53
; %bb.52:                               ;   in Loop: Header=BB2_51 Depth=1
	s_cvt_f32_u32 s0, s44
	s_cvt_f32_u32 s49, s45
	s_sub_nc_u64 s[52:53], 0, s[44:45]
	s_mov_b32 s57, 0
	v_dual_mov_b32 v4, v2 :: v_dual_mov_b32 v5, v6
	s_fmamk_f32 s0, s49, 0x4f800000, s0
	v_dual_mov_b32 v8, v3 :: v_dual_mov_b32 v9, v6
	v_dual_mov_b32 v13, v6 :: v_dual_mov_b32 v7, v6
	s_delay_alu instid0(SALU_CYCLE_1) | instskip(NEXT) | instid1(TRANS32_DEP_1)
	v_s_rcp_f32 s0, s0
	s_mul_f32 s0, s0, 0x5f7ffffc
	s_delay_alu instid0(SALU_CYCLE_3) | instskip(NEXT) | instid1(SALU_CYCLE_3)
	s_mul_f32 s49, s0, 0x2f800000
	s_trunc_f32 s49, s49
	s_delay_alu instid0(SALU_CYCLE_3) | instskip(SKIP_1) | instid1(SALU_CYCLE_2)
	s_fmamk_f32 s0, s49, 0xcf800000, s0
	s_cvt_u32_f32 s51, s49
	s_cvt_u32_f32 s50, s0
	s_delay_alu instid0(SALU_CYCLE_3) | instskip(NEXT) | instid1(SALU_CYCLE_1)
	s_mul_u64 s[54:55], s[52:53], s[50:51]
	s_mul_hi_u32 s59, s50, s55
	s_mul_i32 s58, s50, s55
	s_mul_hi_u32 s56, s50, s54
	s_mul_i32 s49, s51, s54
	s_add_nc_u64 s[58:59], s[56:57], s[58:59]
	s_mul_hi_u32 s0, s51, s54
	s_mul_hi_u32 s60, s51, s55
	s_add_co_u32 s49, s58, s49
	s_add_co_ci_u32 s56, s59, s0
	s_mul_i32 s54, s51, s55
	s_add_co_ci_u32 s55, s60, 0
	s_delay_alu instid0(SALU_CYCLE_1) | instskip(NEXT) | instid1(SALU_CYCLE_1)
	s_add_nc_u64 s[54:55], s[56:57], s[54:55]
	s_add_co_u32 s50, s50, s54
	s_cselect_b32 s0, -1, 0
	s_delay_alu instid0(SALU_CYCLE_1) | instskip(SKIP_1) | instid1(SALU_CYCLE_1)
	s_cmp_lg_u32 s0, 0
	s_add_co_ci_u32 s51, s51, s55
	s_mul_u64 s[52:53], s[52:53], s[50:51]
	s_delay_alu instid0(SALU_CYCLE_1)
	s_mul_hi_u32 s55, s50, s53
	s_mul_i32 s54, s50, s53
	s_mul_hi_u32 s56, s50, s52
	s_mul_i32 s49, s51, s52
	s_add_nc_u64 s[54:55], s[56:57], s[54:55]
	s_mul_hi_u32 s0, s51, s52
	s_mul_hi_u32 s58, s51, s53
	s_add_co_u32 s49, s54, s49
	s_add_co_ci_u32 s56, s55, s0
	s_mul_i32 s52, s51, s53
	s_add_co_ci_u32 s53, s58, 0
	s_delay_alu instid0(SALU_CYCLE_1) | instskip(NEXT) | instid1(SALU_CYCLE_1)
	s_add_nc_u64 s[52:53], s[56:57], s[52:53]
	s_add_co_u32 s0, s50, s52
	s_cselect_b32 s49, -1, 0
	v_nop
	v_mul_hi_u32 v12, v2, s0
	s_cmp_lg_u32 s49, 0
	s_add_co_ci_u32 s56, s51, s53
	s_mov_b64 s[50:51], 0xffffffff
	v_mul_u64_e32 v[4:5], s[56:57], v[4:5]
	s_and_b64 s[50:51], s[0:1], s[50:51]
	s_delay_alu instid0(SALU_CYCLE_1) | instskip(SKIP_1) | instid1(VALU_DEP_3)
	v_mul_u64_e32 v[10:11], s[50:51], v[8:9]
	v_mul_u64_e32 v[8:9], s[56:57], v[8:9]
	v_add_nc_u64_e32 v[4:5], v[12:13], v[4:5]
	s_delay_alu instid0(VALU_DEP_1) | instskip(NEXT) | instid1(VALU_DEP_2)
	v_add_co_u32 v4, vcc_lo, v4, v10
	v_add_co_ci_u32_e32 v6, vcc_lo, v5, v11, vcc_lo
	s_delay_alu instid0(VALU_DEP_4) | instskip(NEXT) | instid1(VALU_DEP_1)
	v_add_co_ci_u32_e32 v9, vcc_lo, 0, v9, vcc_lo
	v_add_nc_u64_e32 v[4:5], v[6:7], v[8:9]
	s_delay_alu instid0(VALU_DEP_1) | instskip(NEXT) | instid1(VALU_DEP_1)
	v_mul_u64_e32 v[6:7], s[44:45], v[4:5]
	v_sub_nc_u32_e32 v8, v3, v7
	s_delay_alu instid0(VALU_DEP_2) | instskip(NEXT) | instid1(VALU_DEP_1)
	v_sub_co_u32 v6, vcc_lo, v2, v6
	v_sub_co_ci_u32_e64 v13, null, v3, v7, vcc_lo
	s_delay_alu instid0(VALU_DEP_3) | instskip(NEXT) | instid1(VALU_DEP_3)
	v_subrev_co_ci_u32_e64 v8, null, s45, v8, vcc_lo
	v_sub_co_u32 v10, s0, v6, s44
	v_cmp_le_u32_e32 vcc_lo, s44, v6
	s_delay_alu instid0(VALU_DEP_3) | instskip(NEXT) | instid1(VALU_DEP_3)
	v_subrev_co_ci_u32_e64 v11, null, 0, v8, s0
	v_cmp_le_u32_e64 s0, s44, v10
	v_add_nc_u64_e32 v[8:9], 2, v[4:5]
	v_cndmask_b32_e64 v14, 0, -1, vcc_lo
	s_delay_alu instid0(VALU_DEP_4) | instskip(SKIP_3) | instid1(VALU_DEP_1)
	v_cmp_eq_u32_e32 vcc_lo, s45, v11
	v_add_nc_u64_e32 v[6:7], 1, v[4:5]
	v_cndmask_b32_e64 v10, 0, -1, s0
	v_cmp_le_u32_e64 s0, s45, v11
	v_cndmask_b32_e64 v12, 0, -1, s0
	v_cmp_eq_u32_e64 s0, s45, v13
	s_delay_alu instid0(VALU_DEP_2) | instskip(SKIP_2) | instid1(VALU_DEP_3)
	v_cndmask_b32_e32 v10, v12, v10, vcc_lo
	v_cmp_le_u32_e32 vcc_lo, s45, v13
	v_cndmask_b32_e64 v11, 0, -1, vcc_lo
	v_cmp_ne_u32_e32 vcc_lo, 0, v10
	s_delay_alu instid0(VALU_DEP_2) | instskip(SKIP_1) | instid1(VALU_DEP_2)
	v_dual_cndmask_b32 v10, v11, v14, s0 :: v_dual_cndmask_b32 v6, v6, v8, vcc_lo
	v_cndmask_b32_e32 v7, v7, v9, vcc_lo
	v_cmp_ne_u32_e32 vcc_lo, 0, v10
	s_delay_alu instid0(VALU_DEP_2)
	v_dual_cndmask_b32 v4, v4, v6 :: v_dual_cndmask_b32 v5, v5, v7
.LBB2_53:                               ;   in Loop: Header=BB2_51 Depth=1
	s_and_not1_saveexec_b32 s0, s48
	s_cbranch_execz .LBB2_55
; %bb.54:                               ;   in Loop: Header=BB2_51 Depth=1
	v_cvt_f32_u32_e32 v4, s44
	s_sub_co_i32 s48, 0, s44
	s_delay_alu instid0(VALU_DEP_1) | instskip(SKIP_1) | instid1(TRANS32_DEP_1)
	v_rcp_iflag_f32_e32 v4, v4
	v_nop
	v_mul_f32_e32 v4, 0x4f7ffffe, v4
	s_delay_alu instid0(VALU_DEP_1) | instskip(NEXT) | instid1(VALU_DEP_1)
	v_cvt_u32_f32_e32 v4, v4
	v_mul_lo_u32 v5, s48, v4
	s_delay_alu instid0(VALU_DEP_1) | instskip(NEXT) | instid1(VALU_DEP_1)
	v_mul_hi_u32 v5, v4, v5
	v_add_nc_u32_e32 v4, v4, v5
	s_delay_alu instid0(VALU_DEP_1) | instskip(NEXT) | instid1(VALU_DEP_1)
	v_mul_hi_u32 v4, v2, v4
	v_mul_lo_u32 v5, v4, s44
	s_delay_alu instid0(VALU_DEP_1) | instskip(NEXT) | instid1(VALU_DEP_1)
	v_dual_add_nc_u32 v6, 1, v4 :: v_dual_sub_nc_u32 v5, v2, v5
	v_subrev_nc_u32_e32 v7, s44, v5
	v_cmp_le_u32_e32 vcc_lo, s44, v5
	s_delay_alu instid0(VALU_DEP_2) | instskip(NEXT) | instid1(VALU_DEP_1)
	v_dual_cndmask_b32 v5, v5, v7 :: v_dual_cndmask_b32 v4, v4, v6
	v_cmp_le_u32_e32 vcc_lo, s44, v5
	s_delay_alu instid0(VALU_DEP_2) | instskip(NEXT) | instid1(VALU_DEP_1)
	v_dual_mov_b32 v5, 0 :: v_dual_add_nc_u32 v6, 1, v4
	v_cndmask_b32_e32 v4, v4, v6, vcc_lo
.LBB2_55:                               ;   in Loop: Header=BB2_51 Depth=1
	s_or_b32 exec_lo, exec_lo, s0
	s_delay_alu instid0(VALU_DEP_1) | instskip(SKIP_2) | instid1(VALU_DEP_2)
	v_mul_u64_e32 v[6:7], s[44:45], v[4:5]
	s_mov_b32 s0, exec_lo
	v_mov_b32_e32 v10, 0
	v_sub_nc_u64_e32 v[8:9], v[2:3], v[6:7]
                                        ; implicit-def: $vgpr6_vgpr7
	s_delay_alu instid0(VALU_DEP_1) | instskip(NEXT) | instid1(VALU_DEP_1)
	v_or_b32_e32 v11, s43, v9
	v_cmpx_ne_u64_e32 0, v[10:11]
	s_xor_b32 s48, exec_lo, s0
	s_cbranch_execz .LBB2_57
; %bb.56:                               ;   in Loop: Header=BB2_51 Depth=1
	s_cvt_f32_u32 s0, s42
	s_cvt_f32_u32 s49, s43
	s_sub_nc_u64 s[52:53], 0, s[42:43]
	s_mov_b32 s57, 0
	v_dual_mov_b32 v6, v8 :: v_dual_mov_b32 v7, v10
	s_fmamk_f32 s0, s49, 0x4f800000, s0
	v_dual_mov_b32 v12, v9 :: v_dual_mov_b32 v13, v10
	v_dual_mov_b32 v17, v10 :: v_dual_mov_b32 v11, v10
	s_delay_alu instid0(SALU_CYCLE_1) | instskip(NEXT) | instid1(TRANS32_DEP_1)
	v_s_rcp_f32 s0, s0
	s_mul_f32 s0, s0, 0x5f7ffffc
	s_delay_alu instid0(SALU_CYCLE_3) | instskip(NEXT) | instid1(SALU_CYCLE_3)
	s_mul_f32 s49, s0, 0x2f800000
	s_trunc_f32 s49, s49
	s_delay_alu instid0(SALU_CYCLE_3) | instskip(SKIP_1) | instid1(SALU_CYCLE_2)
	s_fmamk_f32 s0, s49, 0xcf800000, s0
	s_cvt_u32_f32 s51, s49
	s_cvt_u32_f32 s50, s0
	s_delay_alu instid0(SALU_CYCLE_3) | instskip(NEXT) | instid1(SALU_CYCLE_1)
	s_mul_u64 s[54:55], s[52:53], s[50:51]
	s_mul_hi_u32 s59, s50, s55
	s_mul_i32 s58, s50, s55
	s_mul_hi_u32 s56, s50, s54
	s_mul_i32 s49, s51, s54
	s_add_nc_u64 s[58:59], s[56:57], s[58:59]
	s_mul_hi_u32 s0, s51, s54
	s_mul_hi_u32 s60, s51, s55
	s_add_co_u32 s49, s58, s49
	s_add_co_ci_u32 s56, s59, s0
	s_mul_i32 s54, s51, s55
	s_add_co_ci_u32 s55, s60, 0
	s_delay_alu instid0(SALU_CYCLE_1) | instskip(NEXT) | instid1(SALU_CYCLE_1)
	s_add_nc_u64 s[54:55], s[56:57], s[54:55]
	s_add_co_u32 s50, s50, s54
	s_cselect_b32 s0, -1, 0
	s_delay_alu instid0(SALU_CYCLE_1) | instskip(SKIP_1) | instid1(SALU_CYCLE_1)
	s_cmp_lg_u32 s0, 0
	s_add_co_ci_u32 s51, s51, s55
	s_mul_u64 s[52:53], s[52:53], s[50:51]
	s_delay_alu instid0(SALU_CYCLE_1)
	s_mul_hi_u32 s55, s50, s53
	s_mul_i32 s54, s50, s53
	s_mul_hi_u32 s56, s50, s52
	s_mul_i32 s49, s51, s52
	s_add_nc_u64 s[54:55], s[56:57], s[54:55]
	s_mul_hi_u32 s0, s51, s52
	s_mul_hi_u32 s58, s51, s53
	s_add_co_u32 s49, s54, s49
	s_add_co_ci_u32 s56, s55, s0
	s_mul_i32 s52, s51, s53
	s_add_co_ci_u32 s53, s58, 0
	s_delay_alu instid0(SALU_CYCLE_1) | instskip(NEXT) | instid1(SALU_CYCLE_1)
	s_add_nc_u64 s[52:53], s[56:57], s[52:53]
	s_add_co_u32 s0, s50, s52
	s_cselect_b32 s49, -1, 0
	v_nop
	v_mul_hi_u32 v16, v8, s0
	s_cmp_lg_u32 s49, 0
	s_add_co_ci_u32 s56, s51, s53
	s_mov_b64 s[50:51], 0xffffffff
	v_mul_u64_e32 v[6:7], s[56:57], v[6:7]
	s_and_b64 s[50:51], s[0:1], s[50:51]
	s_delay_alu instid0(SALU_CYCLE_1) | instskip(SKIP_1) | instid1(VALU_DEP_3)
	v_mul_u64_e32 v[14:15], s[50:51], v[12:13]
	v_mul_u64_e32 v[12:13], s[56:57], v[12:13]
	v_add_nc_u64_e32 v[6:7], v[16:17], v[6:7]
	s_delay_alu instid0(VALU_DEP_1) | instskip(NEXT) | instid1(VALU_DEP_2)
	v_add_co_u32 v6, vcc_lo, v6, v14
	v_add_co_ci_u32_e32 v10, vcc_lo, v7, v15, vcc_lo
	s_delay_alu instid0(VALU_DEP_4) | instskip(NEXT) | instid1(VALU_DEP_1)
	v_add_co_ci_u32_e32 v13, vcc_lo, 0, v13, vcc_lo
	v_add_nc_u64_e32 v[6:7], v[10:11], v[12:13]
	s_delay_alu instid0(VALU_DEP_1) | instskip(NEXT) | instid1(VALU_DEP_1)
	v_mul_u64_e32 v[10:11], s[42:43], v[6:7]
	v_sub_nc_u32_e32 v12, v9, v11
	s_delay_alu instid0(VALU_DEP_2) | instskip(NEXT) | instid1(VALU_DEP_1)
	v_sub_co_u32 v10, vcc_lo, v8, v10
	v_sub_co_ci_u32_e64 v17, null, v9, v11, vcc_lo
	s_delay_alu instid0(VALU_DEP_3) | instskip(NEXT) | instid1(VALU_DEP_3)
	v_subrev_co_ci_u32_e64 v12, null, s43, v12, vcc_lo
	v_sub_co_u32 v14, s0, v10, s42
	v_cmp_le_u32_e32 vcc_lo, s42, v10
	s_delay_alu instid0(VALU_DEP_3) | instskip(NEXT) | instid1(VALU_DEP_3)
	v_subrev_co_ci_u32_e64 v15, null, 0, v12, s0
	v_cmp_le_u32_e64 s0, s42, v14
	v_add_nc_u64_e32 v[12:13], 2, v[6:7]
	v_cndmask_b32_e64 v18, 0, -1, vcc_lo
	s_delay_alu instid0(VALU_DEP_4) | instskip(SKIP_3) | instid1(VALU_DEP_1)
	v_cmp_eq_u32_e32 vcc_lo, s43, v15
	v_add_nc_u64_e32 v[10:11], 1, v[6:7]
	v_cndmask_b32_e64 v14, 0, -1, s0
	v_cmp_le_u32_e64 s0, s43, v15
	v_cndmask_b32_e64 v16, 0, -1, s0
	v_cmp_eq_u32_e64 s0, s43, v17
	s_delay_alu instid0(VALU_DEP_2) | instskip(SKIP_2) | instid1(VALU_DEP_3)
	v_cndmask_b32_e32 v14, v16, v14, vcc_lo
	v_cmp_le_u32_e32 vcc_lo, s43, v17
	v_cndmask_b32_e64 v15, 0, -1, vcc_lo
	v_cmp_ne_u32_e32 vcc_lo, 0, v14
	s_delay_alu instid0(VALU_DEP_2) | instskip(SKIP_1) | instid1(VALU_DEP_2)
	v_dual_cndmask_b32 v14, v15, v18, s0 :: v_dual_cndmask_b32 v10, v10, v12, vcc_lo
	v_cndmask_b32_e32 v11, v11, v13, vcc_lo
	v_cmp_ne_u32_e32 vcc_lo, 0, v14
	s_delay_alu instid0(VALU_DEP_2)
	v_dual_cndmask_b32 v6, v6, v10 :: v_dual_cndmask_b32 v7, v7, v11
.LBB2_57:                               ;   in Loop: Header=BB2_51 Depth=1
	s_and_not1_saveexec_b32 s0, s48
	s_cbranch_execz .LBB2_59
; %bb.58:                               ;   in Loop: Header=BB2_51 Depth=1
	v_cvt_f32_u32_e32 v6, s42
	s_sub_co_i32 s48, 0, s42
	s_delay_alu instid0(VALU_DEP_1) | instskip(SKIP_1) | instid1(TRANS32_DEP_1)
	v_rcp_iflag_f32_e32 v6, v6
	v_nop
	v_mul_f32_e32 v6, 0x4f7ffffe, v6
	s_delay_alu instid0(VALU_DEP_1) | instskip(NEXT) | instid1(VALU_DEP_1)
	v_cvt_u32_f32_e32 v6, v6
	v_mul_lo_u32 v7, s48, v6
	s_delay_alu instid0(VALU_DEP_1) | instskip(NEXT) | instid1(VALU_DEP_1)
	v_mul_hi_u32 v7, v6, v7
	v_add_nc_u32_e32 v6, v6, v7
	s_delay_alu instid0(VALU_DEP_1) | instskip(NEXT) | instid1(VALU_DEP_1)
	v_mul_hi_u32 v6, v8, v6
	v_mul_lo_u32 v7, v6, s42
	s_delay_alu instid0(VALU_DEP_1) | instskip(NEXT) | instid1(VALU_DEP_1)
	v_sub_nc_u32_e32 v7, v8, v7
	v_subrev_nc_u32_e32 v11, s42, v7
	v_cmp_le_u32_e32 vcc_lo, s42, v7
	s_delay_alu instid0(VALU_DEP_2) | instskip(NEXT) | instid1(VALU_DEP_1)
	v_dual_cndmask_b32 v7, v7, v11 :: v_dual_add_nc_u32 v10, 1, v6
	v_cndmask_b32_e32 v6, v6, v10, vcc_lo
	s_delay_alu instid0(VALU_DEP_2) | instskip(NEXT) | instid1(VALU_DEP_2)
	v_cmp_le_u32_e32 vcc_lo, s42, v7
	v_dual_mov_b32 v7, 0 :: v_dual_add_nc_u32 v10, 1, v6
	s_delay_alu instid0(VALU_DEP_1)
	v_cndmask_b32_e32 v6, v6, v10, vcc_lo
.LBB2_59:                               ;   in Loop: Header=BB2_51 Depth=1
	s_or_b32 exec_lo, exec_lo, s0
	s_delay_alu instid0(VALU_DEP_1) | instskip(SKIP_2) | instid1(VALU_DEP_2)
	v_mul_u64_e32 v[10:11], s[42:43], v[6:7]
	s_mov_b32 s0, exec_lo
	v_mov_b32_e32 v12, 0
	v_sub_nc_u64_e32 v[10:11], v[8:9], v[10:11]
                                        ; implicit-def: $vgpr8_vgpr9
	s_delay_alu instid0(VALU_DEP_1) | instskip(NEXT) | instid1(VALU_DEP_1)
	v_or_b32_e32 v13, s35, v11
	v_cmpx_ne_u64_e32 0, v[12:13]
	s_xor_b32 s48, exec_lo, s0
	s_cbranch_execz .LBB2_61
; %bb.60:                               ;   in Loop: Header=BB2_51 Depth=1
	s_cvt_f32_u32 s0, s34
	s_cvt_f32_u32 s49, s35
	s_sub_nc_u64 s[52:53], 0, s[34:35]
	s_mov_b32 s57, 0
	v_dual_mov_b32 v8, v10 :: v_dual_mov_b32 v9, v12
	s_fmamk_f32 s0, s49, 0x4f800000, s0
	v_dual_mov_b32 v14, v11 :: v_dual_mov_b32 v15, v12
	v_dual_mov_b32 v19, v12 :: v_dual_mov_b32 v13, v12
	s_delay_alu instid0(SALU_CYCLE_1) | instskip(NEXT) | instid1(TRANS32_DEP_1)
	v_s_rcp_f32 s0, s0
	s_mul_f32 s0, s0, 0x5f7ffffc
	s_delay_alu instid0(SALU_CYCLE_3) | instskip(NEXT) | instid1(SALU_CYCLE_3)
	s_mul_f32 s49, s0, 0x2f800000
	s_trunc_f32 s49, s49
	s_delay_alu instid0(SALU_CYCLE_3) | instskip(SKIP_1) | instid1(SALU_CYCLE_2)
	s_fmamk_f32 s0, s49, 0xcf800000, s0
	s_cvt_u32_f32 s51, s49
	s_cvt_u32_f32 s50, s0
	s_delay_alu instid0(SALU_CYCLE_3) | instskip(NEXT) | instid1(SALU_CYCLE_1)
	s_mul_u64 s[54:55], s[52:53], s[50:51]
	s_mul_hi_u32 s59, s50, s55
	s_mul_i32 s58, s50, s55
	s_mul_hi_u32 s56, s50, s54
	s_mul_i32 s49, s51, s54
	s_add_nc_u64 s[58:59], s[56:57], s[58:59]
	s_mul_hi_u32 s0, s51, s54
	s_mul_hi_u32 s60, s51, s55
	s_add_co_u32 s49, s58, s49
	s_add_co_ci_u32 s56, s59, s0
	s_mul_i32 s54, s51, s55
	s_add_co_ci_u32 s55, s60, 0
	s_delay_alu instid0(SALU_CYCLE_1) | instskip(NEXT) | instid1(SALU_CYCLE_1)
	s_add_nc_u64 s[54:55], s[56:57], s[54:55]
	s_add_co_u32 s50, s50, s54
	s_cselect_b32 s0, -1, 0
	s_delay_alu instid0(SALU_CYCLE_1) | instskip(SKIP_1) | instid1(SALU_CYCLE_1)
	s_cmp_lg_u32 s0, 0
	s_add_co_ci_u32 s51, s51, s55
	s_mul_u64 s[52:53], s[52:53], s[50:51]
	s_delay_alu instid0(SALU_CYCLE_1)
	s_mul_hi_u32 s55, s50, s53
	s_mul_i32 s54, s50, s53
	s_mul_hi_u32 s56, s50, s52
	s_mul_i32 s49, s51, s52
	s_add_nc_u64 s[54:55], s[56:57], s[54:55]
	s_mul_hi_u32 s0, s51, s52
	s_mul_hi_u32 s58, s51, s53
	s_add_co_u32 s49, s54, s49
	s_add_co_ci_u32 s56, s55, s0
	s_mul_i32 s52, s51, s53
	s_add_co_ci_u32 s53, s58, 0
	s_delay_alu instid0(SALU_CYCLE_1) | instskip(NEXT) | instid1(SALU_CYCLE_1)
	s_add_nc_u64 s[52:53], s[56:57], s[52:53]
	s_add_co_u32 s0, s50, s52
	s_cselect_b32 s49, -1, 0
	v_nop
	v_mul_hi_u32 v18, v10, s0
	s_cmp_lg_u32 s49, 0
	s_add_co_ci_u32 s56, s51, s53
	s_mov_b64 s[50:51], 0xffffffff
	v_mul_u64_e32 v[8:9], s[56:57], v[8:9]
	s_and_b64 s[50:51], s[0:1], s[50:51]
	s_delay_alu instid0(SALU_CYCLE_1) | instskip(SKIP_1) | instid1(VALU_DEP_3)
	v_mul_u64_e32 v[16:17], s[50:51], v[14:15]
	v_mul_u64_e32 v[14:15], s[56:57], v[14:15]
	v_add_nc_u64_e32 v[8:9], v[18:19], v[8:9]
	s_delay_alu instid0(VALU_DEP_1) | instskip(NEXT) | instid1(VALU_DEP_2)
	v_add_co_u32 v8, vcc_lo, v8, v16
	v_add_co_ci_u32_e32 v12, vcc_lo, v9, v17, vcc_lo
	s_delay_alu instid0(VALU_DEP_4) | instskip(NEXT) | instid1(VALU_DEP_1)
	v_add_co_ci_u32_e32 v15, vcc_lo, 0, v15, vcc_lo
	v_add_nc_u64_e32 v[8:9], v[12:13], v[14:15]
	s_delay_alu instid0(VALU_DEP_1) | instskip(NEXT) | instid1(VALU_DEP_1)
	v_mul_u64_e32 v[12:13], s[34:35], v[8:9]
	v_sub_nc_u32_e32 v14, v11, v13
	s_delay_alu instid0(VALU_DEP_2) | instskip(NEXT) | instid1(VALU_DEP_1)
	v_sub_co_u32 v12, vcc_lo, v10, v12
	v_sub_co_ci_u32_e64 v19, null, v11, v13, vcc_lo
	s_delay_alu instid0(VALU_DEP_3) | instskip(NEXT) | instid1(VALU_DEP_3)
	v_subrev_co_ci_u32_e64 v14, null, s35, v14, vcc_lo
	v_sub_co_u32 v16, s0, v12, s34
	v_cmp_le_u32_e32 vcc_lo, s34, v12
	s_delay_alu instid0(VALU_DEP_3) | instskip(NEXT) | instid1(VALU_DEP_3)
	v_subrev_co_ci_u32_e64 v17, null, 0, v14, s0
	v_cmp_le_u32_e64 s0, s34, v16
	v_add_nc_u64_e32 v[14:15], 2, v[8:9]
	v_cndmask_b32_e64 v20, 0, -1, vcc_lo
	s_delay_alu instid0(VALU_DEP_4) | instskip(SKIP_3) | instid1(VALU_DEP_1)
	v_cmp_eq_u32_e32 vcc_lo, s35, v17
	v_add_nc_u64_e32 v[12:13], 1, v[8:9]
	v_cndmask_b32_e64 v16, 0, -1, s0
	v_cmp_le_u32_e64 s0, s35, v17
	v_cndmask_b32_e64 v18, 0, -1, s0
	v_cmp_eq_u32_e64 s0, s35, v19
	s_delay_alu instid0(VALU_DEP_2) | instskip(SKIP_2) | instid1(VALU_DEP_3)
	v_cndmask_b32_e32 v16, v18, v16, vcc_lo
	v_cmp_le_u32_e32 vcc_lo, s35, v19
	v_cndmask_b32_e64 v17, 0, -1, vcc_lo
	v_cmp_ne_u32_e32 vcc_lo, 0, v16
	s_delay_alu instid0(VALU_DEP_2) | instskip(SKIP_1) | instid1(VALU_DEP_2)
	v_dual_cndmask_b32 v16, v17, v20, s0 :: v_dual_cndmask_b32 v12, v12, v14, vcc_lo
	v_cndmask_b32_e32 v13, v13, v15, vcc_lo
	v_cmp_ne_u32_e32 vcc_lo, 0, v16
	s_delay_alu instid0(VALU_DEP_2)
	v_dual_cndmask_b32 v8, v8, v12 :: v_dual_cndmask_b32 v9, v9, v13
.LBB2_61:                               ;   in Loop: Header=BB2_51 Depth=1
	s_and_not1_saveexec_b32 s0, s48
	s_cbranch_execz .LBB2_63
; %bb.62:                               ;   in Loop: Header=BB2_51 Depth=1
	v_cvt_f32_u32_e32 v8, s34
	s_sub_co_i32 s48, 0, s34
	s_delay_alu instid0(VALU_DEP_1) | instskip(SKIP_1) | instid1(TRANS32_DEP_1)
	v_rcp_iflag_f32_e32 v8, v8
	v_nop
	v_mul_f32_e32 v8, 0x4f7ffffe, v8
	s_delay_alu instid0(VALU_DEP_1) | instskip(NEXT) | instid1(VALU_DEP_1)
	v_cvt_u32_f32_e32 v8, v8
	v_mul_lo_u32 v9, s48, v8
	s_delay_alu instid0(VALU_DEP_1) | instskip(NEXT) | instid1(VALU_DEP_1)
	v_mul_hi_u32 v9, v8, v9
	v_add_nc_u32_e32 v8, v8, v9
	s_delay_alu instid0(VALU_DEP_1) | instskip(NEXT) | instid1(VALU_DEP_1)
	v_mul_hi_u32 v8, v10, v8
	v_mul_lo_u32 v9, v8, s34
	s_delay_alu instid0(VALU_DEP_1) | instskip(NEXT) | instid1(VALU_DEP_1)
	v_sub_nc_u32_e32 v9, v10, v9
	v_subrev_nc_u32_e32 v13, s34, v9
	v_cmp_le_u32_e32 vcc_lo, s34, v9
	s_delay_alu instid0(VALU_DEP_2) | instskip(NEXT) | instid1(VALU_DEP_1)
	v_dual_cndmask_b32 v9, v9, v13 :: v_dual_add_nc_u32 v12, 1, v8
	v_cndmask_b32_e32 v8, v8, v12, vcc_lo
	s_delay_alu instid0(VALU_DEP_2) | instskip(NEXT) | instid1(VALU_DEP_2)
	v_cmp_le_u32_e32 vcc_lo, s34, v9
	v_dual_mov_b32 v9, 0 :: v_dual_add_nc_u32 v12, 1, v8
	s_delay_alu instid0(VALU_DEP_1)
	v_cndmask_b32_e32 v8, v8, v12, vcc_lo
.LBB2_63:                               ;   in Loop: Header=BB2_51 Depth=1
	s_or_b32 exec_lo, exec_lo, s0
	s_delay_alu instid0(VALU_DEP_1) | instskip(SKIP_1) | instid1(VALU_DEP_1)
	v_mul_u64_e32 v[12:13], s[34:35], v[8:9]
                                        ; implicit-def: $vgpr14_vgpr15
	s_mov_b32 s0, exec_lo
	v_sub_nc_u64_e32 v[10:11], v[10:11], v[12:13]
	s_delay_alu instid0(VALU_DEP_1) | instskip(NEXT) | instid1(VALU_DEP_1)
	v_dual_mov_b32 v12, 0 :: v_dual_bitop2_b32 v13, s13, v11 bitop3:0x54
	v_cmpx_ne_u64_e32 0, v[12:13]
	s_xor_b32 s48, exec_lo, s0
	s_cbranch_execz .LBB2_65
; %bb.64:                               ;   in Loop: Header=BB2_51 Depth=1
	s_cvt_f32_u32 s0, s12
	s_cvt_f32_u32 s49, s13
	s_sub_nc_u64 s[52:53], 0, s[12:13]
	s_mov_b32 s57, 0
	v_dual_mov_b32 v14, v10 :: v_dual_mov_b32 v15, v12
	s_fmamk_f32 s0, s49, 0x4f800000, s0
	v_dual_mov_b32 v16, v11 :: v_dual_mov_b32 v17, v12
	v_dual_mov_b32 v21, v12 :: v_dual_mov_b32 v13, v12
	s_delay_alu instid0(SALU_CYCLE_1) | instskip(NEXT) | instid1(TRANS32_DEP_1)
	v_s_rcp_f32 s0, s0
	s_mul_f32 s0, s0, 0x5f7ffffc
	s_delay_alu instid0(SALU_CYCLE_3) | instskip(NEXT) | instid1(SALU_CYCLE_3)
	s_mul_f32 s49, s0, 0x2f800000
	s_trunc_f32 s49, s49
	s_delay_alu instid0(SALU_CYCLE_3) | instskip(SKIP_1) | instid1(SALU_CYCLE_2)
	s_fmamk_f32 s0, s49, 0xcf800000, s0
	s_cvt_u32_f32 s51, s49
	s_cvt_u32_f32 s50, s0
	s_delay_alu instid0(SALU_CYCLE_3) | instskip(NEXT) | instid1(SALU_CYCLE_1)
	s_mul_u64 s[54:55], s[52:53], s[50:51]
	s_mul_hi_u32 s59, s50, s55
	s_mul_i32 s58, s50, s55
	s_mul_hi_u32 s56, s50, s54
	s_mul_i32 s49, s51, s54
	s_add_nc_u64 s[58:59], s[56:57], s[58:59]
	s_mul_hi_u32 s0, s51, s54
	s_mul_hi_u32 s60, s51, s55
	s_add_co_u32 s49, s58, s49
	s_add_co_ci_u32 s56, s59, s0
	s_mul_i32 s54, s51, s55
	s_add_co_ci_u32 s55, s60, 0
	s_delay_alu instid0(SALU_CYCLE_1) | instskip(NEXT) | instid1(SALU_CYCLE_1)
	s_add_nc_u64 s[54:55], s[56:57], s[54:55]
	s_add_co_u32 s50, s50, s54
	s_cselect_b32 s0, -1, 0
	s_delay_alu instid0(SALU_CYCLE_1) | instskip(SKIP_1) | instid1(SALU_CYCLE_1)
	s_cmp_lg_u32 s0, 0
	s_add_co_ci_u32 s51, s51, s55
	s_mul_u64 s[52:53], s[52:53], s[50:51]
	s_delay_alu instid0(SALU_CYCLE_1)
	s_mul_hi_u32 s55, s50, s53
	s_mul_i32 s54, s50, s53
	s_mul_hi_u32 s56, s50, s52
	s_mul_i32 s49, s51, s52
	s_add_nc_u64 s[54:55], s[56:57], s[54:55]
	s_mul_hi_u32 s0, s51, s52
	s_mul_hi_u32 s58, s51, s53
	s_add_co_u32 s49, s54, s49
	s_add_co_ci_u32 s56, s55, s0
	s_mul_i32 s52, s51, s53
	s_add_co_ci_u32 s53, s58, 0
	s_delay_alu instid0(SALU_CYCLE_1) | instskip(NEXT) | instid1(SALU_CYCLE_1)
	s_add_nc_u64 s[52:53], s[56:57], s[52:53]
	s_add_co_u32 s0, s50, s52
	s_cselect_b32 s49, -1, 0
	v_nop
	v_mul_hi_u32 v20, v10, s0
	s_cmp_lg_u32 s49, 0
	s_add_co_ci_u32 s56, s51, s53
	s_mov_b64 s[50:51], 0xffffffff
	v_mul_u64_e32 v[14:15], s[56:57], v[14:15]
	s_and_b64 s[50:51], s[0:1], s[50:51]
	s_delay_alu instid0(SALU_CYCLE_1) | instskip(SKIP_1) | instid1(VALU_DEP_3)
	v_mul_u64_e32 v[18:19], s[50:51], v[16:17]
	v_mul_u64_e32 v[16:17], s[56:57], v[16:17]
	v_add_nc_u64_e32 v[14:15], v[20:21], v[14:15]
	s_delay_alu instid0(VALU_DEP_1) | instskip(NEXT) | instid1(VALU_DEP_2)
	v_add_co_u32 v12, vcc_lo, v14, v18
	v_add_co_ci_u32_e32 v12, vcc_lo, v15, v19, vcc_lo
	s_delay_alu instid0(VALU_DEP_4) | instskip(NEXT) | instid1(VALU_DEP_1)
	v_add_co_ci_u32_e32 v17, vcc_lo, 0, v17, vcc_lo
	v_add_nc_u64_e32 v[12:13], v[12:13], v[16:17]
	s_delay_alu instid0(VALU_DEP_1) | instskip(NEXT) | instid1(VALU_DEP_1)
	v_mul_u64_e32 v[14:15], s[12:13], v[12:13]
	v_sub_nc_u32_e32 v16, v11, v15
	s_delay_alu instid0(VALU_DEP_2) | instskip(NEXT) | instid1(VALU_DEP_1)
	v_sub_co_u32 v14, vcc_lo, v10, v14
	v_sub_co_ci_u32_e64 v21, null, v11, v15, vcc_lo
	s_delay_alu instid0(VALU_DEP_3) | instskip(NEXT) | instid1(VALU_DEP_3)
	v_subrev_co_ci_u32_e64 v16, null, s13, v16, vcc_lo
	v_sub_co_u32 v18, s0, v14, s12
	v_cmp_le_u32_e32 vcc_lo, s12, v14
	s_delay_alu instid0(VALU_DEP_3) | instskip(NEXT) | instid1(VALU_DEP_3)
	v_subrev_co_ci_u32_e64 v19, null, 0, v16, s0
	v_cmp_le_u32_e64 s0, s12, v18
	v_add_nc_u64_e32 v[16:17], 2, v[12:13]
	v_cndmask_b32_e64 v22, 0, -1, vcc_lo
	s_delay_alu instid0(VALU_DEP_4) | instskip(SKIP_3) | instid1(VALU_DEP_1)
	v_cmp_eq_u32_e32 vcc_lo, s13, v19
	v_add_nc_u64_e32 v[14:15], 1, v[12:13]
	v_cndmask_b32_e64 v18, 0, -1, s0
	v_cmp_le_u32_e64 s0, s13, v19
	v_cndmask_b32_e64 v20, 0, -1, s0
	v_cmp_eq_u32_e64 s0, s13, v21
	s_delay_alu instid0(VALU_DEP_2) | instskip(SKIP_2) | instid1(VALU_DEP_3)
	v_cndmask_b32_e32 v18, v20, v18, vcc_lo
	v_cmp_le_u32_e32 vcc_lo, s13, v21
	v_cndmask_b32_e64 v19, 0, -1, vcc_lo
	v_cmp_ne_u32_e32 vcc_lo, 0, v18
	s_delay_alu instid0(VALU_DEP_2) | instskip(SKIP_1) | instid1(VALU_DEP_2)
	v_dual_cndmask_b32 v18, v19, v22, s0 :: v_dual_cndmask_b32 v14, v14, v16, vcc_lo
	v_cndmask_b32_e32 v15, v15, v17, vcc_lo
	v_cmp_ne_u32_e32 vcc_lo, 0, v18
	s_delay_alu instid0(VALU_DEP_2)
	v_dual_cndmask_b32 v14, v12, v14 :: v_dual_cndmask_b32 v15, v13, v15
.LBB2_65:                               ;   in Loop: Header=BB2_51 Depth=1
	s_and_not1_saveexec_b32 s0, s48
	s_cbranch_execz .LBB2_50
; %bb.66:                               ;   in Loop: Header=BB2_51 Depth=1
	v_cvt_f32_u32_e32 v12, s12
	s_sub_co_i32 s48, 0, s12
	s_delay_alu instid0(VALU_DEP_1) | instskip(SKIP_1) | instid1(TRANS32_DEP_1)
	v_rcp_iflag_f32_e32 v12, v12
	v_nop
	v_mul_f32_e32 v12, 0x4f7ffffe, v12
	s_delay_alu instid0(VALU_DEP_1) | instskip(NEXT) | instid1(VALU_DEP_1)
	v_cvt_u32_f32_e32 v12, v12
	v_mul_lo_u32 v13, s48, v12
	s_delay_alu instid0(VALU_DEP_1) | instskip(NEXT) | instid1(VALU_DEP_1)
	v_mul_hi_u32 v13, v12, v13
	v_add_nc_u32_e32 v12, v12, v13
	s_delay_alu instid0(VALU_DEP_1) | instskip(NEXT) | instid1(VALU_DEP_1)
	v_mul_hi_u32 v12, v10, v12
	v_mul_lo_u32 v13, v12, s12
	s_delay_alu instid0(VALU_DEP_1) | instskip(NEXT) | instid1(VALU_DEP_1)
	v_dual_add_nc_u32 v14, 1, v12 :: v_dual_sub_nc_u32 v13, v10, v13
	v_subrev_nc_u32_e32 v15, s12, v13
	v_cmp_le_u32_e32 vcc_lo, s12, v13
	s_delay_alu instid0(VALU_DEP_2) | instskip(NEXT) | instid1(VALU_DEP_4)
	v_dual_cndmask_b32 v13, v13, v15, vcc_lo :: v_dual_mov_b32 v15, 0
	v_cndmask_b32_e32 v12, v12, v14, vcc_lo
	s_delay_alu instid0(VALU_DEP_2) | instskip(NEXT) | instid1(VALU_DEP_2)
	v_cmp_le_u32_e32 vcc_lo, s12, v13
	v_add_nc_u32_e32 v14, 1, v12
	s_delay_alu instid0(VALU_DEP_1)
	v_cndmask_b32_e32 v14, v12, v14, vcc_lo
	s_branch .LBB2_50
.LBB2_67:                               ;   in Loop: Header=BB2_68 Depth=1
	s_or_b32 exec_lo, exec_lo, s0
	s_delay_alu instid0(VALU_DEP_1)
	v_mul_u64_e32 v[12:13], s[34:35], v[14:15]
	v_mul_u64_e32 v[16:17], s[14:15], v[4:5]
	;; [unrolled: 1-line block ×4, first 2 shown]
	s_lshl_b64 s[50:51], s[22:23], 2
	v_mul_u64_e32 v[4:5], s[24:25], v[4:5]
	v_mul_u64_e32 v[6:7], s[26:27], v[6:7]
	;; [unrolled: 1-line block ×3, first 2 shown]
	v_add_nc_u64_e32 v[2:3], s[2:3], v[2:3]
	s_delay_alu instid0(VALU_DEP_1)
	v_cmp_le_u64_e32 vcc_lo, s[48:49], v[2:3]
	s_or_b32 s33, vcc_lo, s33
	v_sub_nc_u64_e32 v[22:23], v[10:11], v[12:13]
	v_mul_u64_e32 v[10:11], s[20:21], v[14:15]
	v_lshl_add_u64 v[16:17], v[16:17], 2, s[36:37]
	v_mul_u64_e32 v[14:15], s[30:31], v[14:15]
	v_lshl_add_u64 v[4:5], v[4:5], 2, s[38:39]
	s_delay_alu instid0(VALU_DEP_3) | instskip(SKIP_1) | instid1(VALU_DEP_3)
	v_lshl_add_u64 v[16:17], v[18:19], 2, v[16:17]
	v_mul_u64_e32 v[12:13], s[22:23], v[22:23]
	v_lshl_add_u64 v[4:5], v[6:7], 2, v[4:5]
	s_delay_alu instid0(VALU_DEP_3) | instskip(NEXT) | instid1(VALU_DEP_2)
	v_lshl_add_u64 v[16:17], v[20:21], 2, v[16:17]
	v_lshl_add_u64 v[4:5], v[8:9], 2, v[4:5]
	s_delay_alu instid0(VALU_DEP_2) | instskip(NEXT) | instid1(VALU_DEP_2)
	v_lshl_add_u64 v[10:11], v[10:11], 2, v[16:17]
	v_lshl_add_u64 v[4:5], v[14:15], 2, v[4:5]
	s_delay_alu instid0(VALU_DEP_1) | instskip(NEXT) | instid1(VALU_DEP_3)
	v_lshl_add_u64 v[4:5], v[22:23], 4, v[4:5]
	v_lshl_add_u64 v[16:17], v[12:13], 4, v[10:11]
	s_delay_alu instid0(VALU_DEP_1) | instskip(NEXT) | instid1(VALU_DEP_1)
	v_add_nc_u64_e32 v[18:19], s[50:51], v[16:17]
	v_add_nc_u64_e32 v[20:21], s[50:51], v[18:19]
	s_delay_alu instid0(VALU_DEP_1)
	v_add_nc_u64_e32 v[24:25], s[50:51], v[20:21]
	s_clause 0x3
	global_load_b32 v10, v[16:17], off
	global_load_b32 v11, v[18:19], off
	;; [unrolled: 1-line block ×4, first 2 shown]
	s_wait_loadcnt 0x0
	global_store_b128 v[4:5], v[10:13], off
	s_wait_xcnt 0x0
	s_and_not1_b32 exec_lo, exec_lo, s33
	s_cbranch_execz .LBB2_7
.LBB2_68:                               ; =>This Inner Loop Header: Depth=1
	v_dual_mov_b32 v6, 0 :: v_dual_bitop2_b32 v7, s47, v3 bitop3:0x54
                                        ; implicit-def: $vgpr4_vgpr5
	s_mov_b32 s0, exec_lo
	s_delay_alu instid0(VALU_DEP_1)
	v_cmpx_ne_u64_e32 0, v[6:7]
	s_xor_b32 s50, exec_lo, s0
	s_cbranch_execz .LBB2_70
; %bb.69:                               ;   in Loop: Header=BB2_68 Depth=1
	s_cvt_f32_u32 s0, s46
	s_cvt_f32_u32 s51, s47
	s_sub_nc_u64 s[54:55], 0, s[46:47]
	s_mov_b32 s59, 0
	v_dual_mov_b32 v4, v2 :: v_dual_mov_b32 v5, v6
	s_fmamk_f32 s0, s51, 0x4f800000, s0
	v_dual_mov_b32 v8, v3 :: v_dual_mov_b32 v9, v6
	v_dual_mov_b32 v13, v6 :: v_dual_mov_b32 v7, v6
	s_delay_alu instid0(SALU_CYCLE_1) | instskip(NEXT) | instid1(TRANS32_DEP_1)
	v_s_rcp_f32 s0, s0
	s_mul_f32 s0, s0, 0x5f7ffffc
	s_delay_alu instid0(SALU_CYCLE_3) | instskip(NEXT) | instid1(SALU_CYCLE_3)
	s_mul_f32 s51, s0, 0x2f800000
	s_trunc_f32 s51, s51
	s_delay_alu instid0(SALU_CYCLE_3) | instskip(SKIP_1) | instid1(SALU_CYCLE_2)
	s_fmamk_f32 s0, s51, 0xcf800000, s0
	s_cvt_u32_f32 s53, s51
	s_cvt_u32_f32 s52, s0
	s_delay_alu instid0(SALU_CYCLE_3) | instskip(NEXT) | instid1(SALU_CYCLE_1)
	s_mul_u64 s[56:57], s[54:55], s[52:53]
	s_mul_hi_u32 s61, s52, s57
	s_mul_i32 s60, s52, s57
	s_mul_hi_u32 s58, s52, s56
	s_mul_i32 s51, s53, s56
	s_add_nc_u64 s[60:61], s[58:59], s[60:61]
	s_mul_hi_u32 s0, s53, s56
	s_mul_hi_u32 s62, s53, s57
	s_add_co_u32 s51, s60, s51
	s_add_co_ci_u32 s58, s61, s0
	s_mul_i32 s56, s53, s57
	s_add_co_ci_u32 s57, s62, 0
	s_delay_alu instid0(SALU_CYCLE_1) | instskip(NEXT) | instid1(SALU_CYCLE_1)
	s_add_nc_u64 s[56:57], s[58:59], s[56:57]
	s_add_co_u32 s52, s52, s56
	s_cselect_b32 s0, -1, 0
	s_delay_alu instid0(SALU_CYCLE_1) | instskip(SKIP_1) | instid1(SALU_CYCLE_1)
	s_cmp_lg_u32 s0, 0
	s_add_co_ci_u32 s53, s53, s57
	s_mul_u64 s[54:55], s[54:55], s[52:53]
	s_delay_alu instid0(SALU_CYCLE_1)
	s_mul_hi_u32 s57, s52, s55
	s_mul_i32 s56, s52, s55
	s_mul_hi_u32 s58, s52, s54
	s_mul_i32 s51, s53, s54
	s_add_nc_u64 s[56:57], s[58:59], s[56:57]
	s_mul_hi_u32 s0, s53, s54
	s_mul_hi_u32 s60, s53, s55
	s_add_co_u32 s51, s56, s51
	s_add_co_ci_u32 s58, s57, s0
	s_mul_i32 s54, s53, s55
	s_add_co_ci_u32 s55, s60, 0
	s_delay_alu instid0(SALU_CYCLE_1) | instskip(NEXT) | instid1(SALU_CYCLE_1)
	s_add_nc_u64 s[54:55], s[58:59], s[54:55]
	s_add_co_u32 s0, s52, s54
	s_cselect_b32 s51, -1, 0
	v_nop
	v_mul_hi_u32 v12, v2, s0
	s_cmp_lg_u32 s51, 0
	s_add_co_ci_u32 s58, s53, s55
	s_mov_b64 s[52:53], 0xffffffff
	v_mul_u64_e32 v[4:5], s[58:59], v[4:5]
	s_and_b64 s[52:53], s[0:1], s[52:53]
	s_delay_alu instid0(SALU_CYCLE_1) | instskip(SKIP_1) | instid1(VALU_DEP_3)
	v_mul_u64_e32 v[10:11], s[52:53], v[8:9]
	v_mul_u64_e32 v[8:9], s[58:59], v[8:9]
	v_add_nc_u64_e32 v[4:5], v[12:13], v[4:5]
	s_delay_alu instid0(VALU_DEP_1) | instskip(NEXT) | instid1(VALU_DEP_2)
	v_add_co_u32 v4, vcc_lo, v4, v10
	v_add_co_ci_u32_e32 v6, vcc_lo, v5, v11, vcc_lo
	s_delay_alu instid0(VALU_DEP_4) | instskip(NEXT) | instid1(VALU_DEP_1)
	v_add_co_ci_u32_e32 v9, vcc_lo, 0, v9, vcc_lo
	v_add_nc_u64_e32 v[4:5], v[6:7], v[8:9]
	s_delay_alu instid0(VALU_DEP_1) | instskip(NEXT) | instid1(VALU_DEP_1)
	v_mul_u64_e32 v[6:7], s[46:47], v[4:5]
	v_sub_nc_u32_e32 v8, v3, v7
	s_delay_alu instid0(VALU_DEP_2) | instskip(NEXT) | instid1(VALU_DEP_1)
	v_sub_co_u32 v6, vcc_lo, v2, v6
	v_sub_co_ci_u32_e64 v13, null, v3, v7, vcc_lo
	s_delay_alu instid0(VALU_DEP_3) | instskip(NEXT) | instid1(VALU_DEP_3)
	v_subrev_co_ci_u32_e64 v8, null, s47, v8, vcc_lo
	v_sub_co_u32 v10, s0, v6, s46
	v_cmp_le_u32_e32 vcc_lo, s46, v6
	s_delay_alu instid0(VALU_DEP_3) | instskip(NEXT) | instid1(VALU_DEP_3)
	v_subrev_co_ci_u32_e64 v11, null, 0, v8, s0
	v_cmp_le_u32_e64 s0, s46, v10
	v_add_nc_u64_e32 v[8:9], 2, v[4:5]
	v_cndmask_b32_e64 v14, 0, -1, vcc_lo
	s_delay_alu instid0(VALU_DEP_4) | instskip(SKIP_3) | instid1(VALU_DEP_1)
	v_cmp_eq_u32_e32 vcc_lo, s47, v11
	v_add_nc_u64_e32 v[6:7], 1, v[4:5]
	v_cndmask_b32_e64 v10, 0, -1, s0
	v_cmp_le_u32_e64 s0, s47, v11
	v_cndmask_b32_e64 v12, 0, -1, s0
	v_cmp_eq_u32_e64 s0, s47, v13
	s_delay_alu instid0(VALU_DEP_2) | instskip(SKIP_2) | instid1(VALU_DEP_3)
	v_cndmask_b32_e32 v10, v12, v10, vcc_lo
	v_cmp_le_u32_e32 vcc_lo, s47, v13
	v_cndmask_b32_e64 v11, 0, -1, vcc_lo
	v_cmp_ne_u32_e32 vcc_lo, 0, v10
	s_delay_alu instid0(VALU_DEP_2) | instskip(SKIP_1) | instid1(VALU_DEP_2)
	v_dual_cndmask_b32 v10, v11, v14, s0 :: v_dual_cndmask_b32 v6, v6, v8, vcc_lo
	v_cndmask_b32_e32 v7, v7, v9, vcc_lo
	v_cmp_ne_u32_e32 vcc_lo, 0, v10
	s_delay_alu instid0(VALU_DEP_2)
	v_dual_cndmask_b32 v4, v4, v6 :: v_dual_cndmask_b32 v5, v5, v7
.LBB2_70:                               ;   in Loop: Header=BB2_68 Depth=1
	s_and_not1_saveexec_b32 s0, s50
	s_cbranch_execz .LBB2_72
; %bb.71:                               ;   in Loop: Header=BB2_68 Depth=1
	v_cvt_f32_u32_e32 v4, s46
	s_sub_co_i32 s50, 0, s46
	s_delay_alu instid0(VALU_DEP_1) | instskip(SKIP_1) | instid1(TRANS32_DEP_1)
	v_rcp_iflag_f32_e32 v4, v4
	v_nop
	v_mul_f32_e32 v4, 0x4f7ffffe, v4
	s_delay_alu instid0(VALU_DEP_1) | instskip(NEXT) | instid1(VALU_DEP_1)
	v_cvt_u32_f32_e32 v4, v4
	v_mul_lo_u32 v5, s50, v4
	s_delay_alu instid0(VALU_DEP_1) | instskip(NEXT) | instid1(VALU_DEP_1)
	v_mul_hi_u32 v5, v4, v5
	v_add_nc_u32_e32 v4, v4, v5
	s_delay_alu instid0(VALU_DEP_1) | instskip(NEXT) | instid1(VALU_DEP_1)
	v_mul_hi_u32 v4, v2, v4
	v_mul_lo_u32 v5, v4, s46
	s_delay_alu instid0(VALU_DEP_1) | instskip(NEXT) | instid1(VALU_DEP_1)
	v_dual_add_nc_u32 v6, 1, v4 :: v_dual_sub_nc_u32 v5, v2, v5
	v_subrev_nc_u32_e32 v7, s46, v5
	v_cmp_le_u32_e32 vcc_lo, s46, v5
	s_delay_alu instid0(VALU_DEP_2) | instskip(NEXT) | instid1(VALU_DEP_1)
	v_dual_cndmask_b32 v5, v5, v7 :: v_dual_cndmask_b32 v4, v4, v6
	v_cmp_le_u32_e32 vcc_lo, s46, v5
	s_delay_alu instid0(VALU_DEP_2) | instskip(NEXT) | instid1(VALU_DEP_1)
	v_dual_mov_b32 v5, 0 :: v_dual_add_nc_u32 v6, 1, v4
	v_cndmask_b32_e32 v4, v4, v6, vcc_lo
.LBB2_72:                               ;   in Loop: Header=BB2_68 Depth=1
	s_or_b32 exec_lo, exec_lo, s0
	s_delay_alu instid0(VALU_DEP_1) | instskip(SKIP_2) | instid1(VALU_DEP_2)
	v_mul_u64_e32 v[6:7], s[46:47], v[4:5]
	s_mov_b32 s0, exec_lo
	v_mov_b32_e32 v10, 0
	v_sub_nc_u64_e32 v[8:9], v[2:3], v[6:7]
                                        ; implicit-def: $vgpr6_vgpr7
	s_delay_alu instid0(VALU_DEP_1) | instskip(NEXT) | instid1(VALU_DEP_1)
	v_or_b32_e32 v11, s45, v9
	v_cmpx_ne_u64_e32 0, v[10:11]
	s_xor_b32 s50, exec_lo, s0
	s_cbranch_execz .LBB2_74
; %bb.73:                               ;   in Loop: Header=BB2_68 Depth=1
	s_cvt_f32_u32 s0, s44
	s_cvt_f32_u32 s51, s45
	s_sub_nc_u64 s[54:55], 0, s[44:45]
	s_mov_b32 s59, 0
	v_dual_mov_b32 v6, v8 :: v_dual_mov_b32 v7, v10
	s_fmamk_f32 s0, s51, 0x4f800000, s0
	v_dual_mov_b32 v12, v9 :: v_dual_mov_b32 v13, v10
	v_dual_mov_b32 v17, v10 :: v_dual_mov_b32 v11, v10
	s_delay_alu instid0(SALU_CYCLE_1) | instskip(NEXT) | instid1(TRANS32_DEP_1)
	v_s_rcp_f32 s0, s0
	s_mul_f32 s0, s0, 0x5f7ffffc
	s_delay_alu instid0(SALU_CYCLE_3) | instskip(NEXT) | instid1(SALU_CYCLE_3)
	s_mul_f32 s51, s0, 0x2f800000
	s_trunc_f32 s51, s51
	s_delay_alu instid0(SALU_CYCLE_3) | instskip(SKIP_1) | instid1(SALU_CYCLE_2)
	s_fmamk_f32 s0, s51, 0xcf800000, s0
	s_cvt_u32_f32 s53, s51
	s_cvt_u32_f32 s52, s0
	s_delay_alu instid0(SALU_CYCLE_3) | instskip(NEXT) | instid1(SALU_CYCLE_1)
	s_mul_u64 s[56:57], s[54:55], s[52:53]
	s_mul_hi_u32 s61, s52, s57
	s_mul_i32 s60, s52, s57
	s_mul_hi_u32 s58, s52, s56
	s_mul_i32 s51, s53, s56
	s_add_nc_u64 s[60:61], s[58:59], s[60:61]
	s_mul_hi_u32 s0, s53, s56
	s_mul_hi_u32 s62, s53, s57
	s_add_co_u32 s51, s60, s51
	s_add_co_ci_u32 s58, s61, s0
	s_mul_i32 s56, s53, s57
	s_add_co_ci_u32 s57, s62, 0
	s_delay_alu instid0(SALU_CYCLE_1) | instskip(NEXT) | instid1(SALU_CYCLE_1)
	s_add_nc_u64 s[56:57], s[58:59], s[56:57]
	s_add_co_u32 s52, s52, s56
	s_cselect_b32 s0, -1, 0
	s_delay_alu instid0(SALU_CYCLE_1) | instskip(SKIP_1) | instid1(SALU_CYCLE_1)
	s_cmp_lg_u32 s0, 0
	s_add_co_ci_u32 s53, s53, s57
	s_mul_u64 s[54:55], s[54:55], s[52:53]
	s_delay_alu instid0(SALU_CYCLE_1)
	s_mul_hi_u32 s57, s52, s55
	s_mul_i32 s56, s52, s55
	s_mul_hi_u32 s58, s52, s54
	s_mul_i32 s51, s53, s54
	s_add_nc_u64 s[56:57], s[58:59], s[56:57]
	s_mul_hi_u32 s0, s53, s54
	s_mul_hi_u32 s60, s53, s55
	s_add_co_u32 s51, s56, s51
	s_add_co_ci_u32 s58, s57, s0
	s_mul_i32 s54, s53, s55
	s_add_co_ci_u32 s55, s60, 0
	s_delay_alu instid0(SALU_CYCLE_1) | instskip(NEXT) | instid1(SALU_CYCLE_1)
	s_add_nc_u64 s[54:55], s[58:59], s[54:55]
	s_add_co_u32 s0, s52, s54
	s_cselect_b32 s51, -1, 0
	v_nop
	v_mul_hi_u32 v16, v8, s0
	s_cmp_lg_u32 s51, 0
	s_add_co_ci_u32 s58, s53, s55
	s_mov_b64 s[52:53], 0xffffffff
	v_mul_u64_e32 v[6:7], s[58:59], v[6:7]
	s_and_b64 s[52:53], s[0:1], s[52:53]
	s_delay_alu instid0(SALU_CYCLE_1) | instskip(SKIP_1) | instid1(VALU_DEP_3)
	v_mul_u64_e32 v[14:15], s[52:53], v[12:13]
	v_mul_u64_e32 v[12:13], s[58:59], v[12:13]
	v_add_nc_u64_e32 v[6:7], v[16:17], v[6:7]
	s_delay_alu instid0(VALU_DEP_1) | instskip(NEXT) | instid1(VALU_DEP_2)
	v_add_co_u32 v6, vcc_lo, v6, v14
	v_add_co_ci_u32_e32 v10, vcc_lo, v7, v15, vcc_lo
	s_delay_alu instid0(VALU_DEP_4) | instskip(NEXT) | instid1(VALU_DEP_1)
	v_add_co_ci_u32_e32 v13, vcc_lo, 0, v13, vcc_lo
	v_add_nc_u64_e32 v[6:7], v[10:11], v[12:13]
	s_delay_alu instid0(VALU_DEP_1) | instskip(NEXT) | instid1(VALU_DEP_1)
	v_mul_u64_e32 v[10:11], s[44:45], v[6:7]
	v_sub_nc_u32_e32 v12, v9, v11
	s_delay_alu instid0(VALU_DEP_2) | instskip(NEXT) | instid1(VALU_DEP_1)
	v_sub_co_u32 v10, vcc_lo, v8, v10
	v_sub_co_ci_u32_e64 v17, null, v9, v11, vcc_lo
	s_delay_alu instid0(VALU_DEP_3) | instskip(NEXT) | instid1(VALU_DEP_3)
	v_subrev_co_ci_u32_e64 v12, null, s45, v12, vcc_lo
	v_sub_co_u32 v14, s0, v10, s44
	v_cmp_le_u32_e32 vcc_lo, s44, v10
	s_delay_alu instid0(VALU_DEP_3) | instskip(NEXT) | instid1(VALU_DEP_3)
	v_subrev_co_ci_u32_e64 v15, null, 0, v12, s0
	v_cmp_le_u32_e64 s0, s44, v14
	v_add_nc_u64_e32 v[12:13], 2, v[6:7]
	v_cndmask_b32_e64 v18, 0, -1, vcc_lo
	s_delay_alu instid0(VALU_DEP_4) | instskip(SKIP_3) | instid1(VALU_DEP_1)
	v_cmp_eq_u32_e32 vcc_lo, s45, v15
	v_add_nc_u64_e32 v[10:11], 1, v[6:7]
	v_cndmask_b32_e64 v14, 0, -1, s0
	v_cmp_le_u32_e64 s0, s45, v15
	v_cndmask_b32_e64 v16, 0, -1, s0
	v_cmp_eq_u32_e64 s0, s45, v17
	s_delay_alu instid0(VALU_DEP_2) | instskip(SKIP_2) | instid1(VALU_DEP_3)
	v_cndmask_b32_e32 v14, v16, v14, vcc_lo
	v_cmp_le_u32_e32 vcc_lo, s45, v17
	v_cndmask_b32_e64 v15, 0, -1, vcc_lo
	v_cmp_ne_u32_e32 vcc_lo, 0, v14
	s_delay_alu instid0(VALU_DEP_2) | instskip(SKIP_1) | instid1(VALU_DEP_2)
	v_dual_cndmask_b32 v14, v15, v18, s0 :: v_dual_cndmask_b32 v10, v10, v12, vcc_lo
	v_cndmask_b32_e32 v11, v11, v13, vcc_lo
	v_cmp_ne_u32_e32 vcc_lo, 0, v14
	s_delay_alu instid0(VALU_DEP_2)
	v_dual_cndmask_b32 v6, v6, v10 :: v_dual_cndmask_b32 v7, v7, v11
.LBB2_74:                               ;   in Loop: Header=BB2_68 Depth=1
	s_and_not1_saveexec_b32 s0, s50
	s_cbranch_execz .LBB2_76
; %bb.75:                               ;   in Loop: Header=BB2_68 Depth=1
	v_cvt_f32_u32_e32 v6, s44
	s_sub_co_i32 s50, 0, s44
	s_delay_alu instid0(VALU_DEP_1) | instskip(SKIP_1) | instid1(TRANS32_DEP_1)
	v_rcp_iflag_f32_e32 v6, v6
	v_nop
	v_mul_f32_e32 v6, 0x4f7ffffe, v6
	s_delay_alu instid0(VALU_DEP_1) | instskip(NEXT) | instid1(VALU_DEP_1)
	v_cvt_u32_f32_e32 v6, v6
	v_mul_lo_u32 v7, s50, v6
	s_delay_alu instid0(VALU_DEP_1) | instskip(NEXT) | instid1(VALU_DEP_1)
	v_mul_hi_u32 v7, v6, v7
	v_add_nc_u32_e32 v6, v6, v7
	s_delay_alu instid0(VALU_DEP_1) | instskip(NEXT) | instid1(VALU_DEP_1)
	v_mul_hi_u32 v6, v8, v6
	v_mul_lo_u32 v7, v6, s44
	s_delay_alu instid0(VALU_DEP_1) | instskip(NEXT) | instid1(VALU_DEP_1)
	v_sub_nc_u32_e32 v7, v8, v7
	v_subrev_nc_u32_e32 v11, s44, v7
	v_cmp_le_u32_e32 vcc_lo, s44, v7
	s_delay_alu instid0(VALU_DEP_2) | instskip(NEXT) | instid1(VALU_DEP_1)
	v_dual_cndmask_b32 v7, v7, v11 :: v_dual_add_nc_u32 v10, 1, v6
	v_cndmask_b32_e32 v6, v6, v10, vcc_lo
	s_delay_alu instid0(VALU_DEP_2) | instskip(NEXT) | instid1(VALU_DEP_2)
	v_cmp_le_u32_e32 vcc_lo, s44, v7
	v_dual_mov_b32 v7, 0 :: v_dual_add_nc_u32 v10, 1, v6
	s_delay_alu instid0(VALU_DEP_1)
	v_cndmask_b32_e32 v6, v6, v10, vcc_lo
.LBB2_76:                               ;   in Loop: Header=BB2_68 Depth=1
	s_or_b32 exec_lo, exec_lo, s0
	s_delay_alu instid0(VALU_DEP_1) | instskip(SKIP_2) | instid1(VALU_DEP_2)
	v_mul_u64_e32 v[10:11], s[44:45], v[6:7]
	s_mov_b32 s0, exec_lo
	v_mov_b32_e32 v12, 0
	v_sub_nc_u64_e32 v[10:11], v[8:9], v[10:11]
                                        ; implicit-def: $vgpr8_vgpr9
	s_delay_alu instid0(VALU_DEP_1) | instskip(NEXT) | instid1(VALU_DEP_1)
	v_or_b32_e32 v13, s43, v11
	v_cmpx_ne_u64_e32 0, v[12:13]
	s_xor_b32 s50, exec_lo, s0
	s_cbranch_execz .LBB2_78
; %bb.77:                               ;   in Loop: Header=BB2_68 Depth=1
	s_cvt_f32_u32 s0, s42
	s_cvt_f32_u32 s51, s43
	s_sub_nc_u64 s[54:55], 0, s[42:43]
	s_mov_b32 s59, 0
	v_dual_mov_b32 v8, v10 :: v_dual_mov_b32 v9, v12
	s_fmamk_f32 s0, s51, 0x4f800000, s0
	v_dual_mov_b32 v14, v11 :: v_dual_mov_b32 v15, v12
	v_dual_mov_b32 v19, v12 :: v_dual_mov_b32 v13, v12
	s_delay_alu instid0(SALU_CYCLE_1) | instskip(NEXT) | instid1(TRANS32_DEP_1)
	v_s_rcp_f32 s0, s0
	s_mul_f32 s0, s0, 0x5f7ffffc
	s_delay_alu instid0(SALU_CYCLE_3) | instskip(NEXT) | instid1(SALU_CYCLE_3)
	s_mul_f32 s51, s0, 0x2f800000
	s_trunc_f32 s51, s51
	s_delay_alu instid0(SALU_CYCLE_3) | instskip(SKIP_1) | instid1(SALU_CYCLE_2)
	s_fmamk_f32 s0, s51, 0xcf800000, s0
	s_cvt_u32_f32 s53, s51
	s_cvt_u32_f32 s52, s0
	s_delay_alu instid0(SALU_CYCLE_3) | instskip(NEXT) | instid1(SALU_CYCLE_1)
	s_mul_u64 s[56:57], s[54:55], s[52:53]
	s_mul_hi_u32 s61, s52, s57
	s_mul_i32 s60, s52, s57
	s_mul_hi_u32 s58, s52, s56
	s_mul_i32 s51, s53, s56
	s_add_nc_u64 s[60:61], s[58:59], s[60:61]
	s_mul_hi_u32 s0, s53, s56
	s_mul_hi_u32 s62, s53, s57
	s_add_co_u32 s51, s60, s51
	s_add_co_ci_u32 s58, s61, s0
	s_mul_i32 s56, s53, s57
	s_add_co_ci_u32 s57, s62, 0
	s_delay_alu instid0(SALU_CYCLE_1) | instskip(NEXT) | instid1(SALU_CYCLE_1)
	s_add_nc_u64 s[56:57], s[58:59], s[56:57]
	s_add_co_u32 s52, s52, s56
	s_cselect_b32 s0, -1, 0
	s_delay_alu instid0(SALU_CYCLE_1) | instskip(SKIP_1) | instid1(SALU_CYCLE_1)
	s_cmp_lg_u32 s0, 0
	s_add_co_ci_u32 s53, s53, s57
	s_mul_u64 s[54:55], s[54:55], s[52:53]
	s_delay_alu instid0(SALU_CYCLE_1)
	s_mul_hi_u32 s57, s52, s55
	s_mul_i32 s56, s52, s55
	s_mul_hi_u32 s58, s52, s54
	s_mul_i32 s51, s53, s54
	s_add_nc_u64 s[56:57], s[58:59], s[56:57]
	s_mul_hi_u32 s0, s53, s54
	s_mul_hi_u32 s60, s53, s55
	s_add_co_u32 s51, s56, s51
	s_add_co_ci_u32 s58, s57, s0
	s_mul_i32 s54, s53, s55
	s_add_co_ci_u32 s55, s60, 0
	s_delay_alu instid0(SALU_CYCLE_1) | instskip(NEXT) | instid1(SALU_CYCLE_1)
	s_add_nc_u64 s[54:55], s[58:59], s[54:55]
	s_add_co_u32 s0, s52, s54
	s_cselect_b32 s51, -1, 0
	v_nop
	v_mul_hi_u32 v18, v10, s0
	s_cmp_lg_u32 s51, 0
	s_add_co_ci_u32 s58, s53, s55
	s_mov_b64 s[52:53], 0xffffffff
	v_mul_u64_e32 v[8:9], s[58:59], v[8:9]
	s_and_b64 s[52:53], s[0:1], s[52:53]
	s_delay_alu instid0(SALU_CYCLE_1) | instskip(SKIP_1) | instid1(VALU_DEP_3)
	v_mul_u64_e32 v[16:17], s[52:53], v[14:15]
	v_mul_u64_e32 v[14:15], s[58:59], v[14:15]
	v_add_nc_u64_e32 v[8:9], v[18:19], v[8:9]
	s_delay_alu instid0(VALU_DEP_1) | instskip(NEXT) | instid1(VALU_DEP_2)
	v_add_co_u32 v8, vcc_lo, v8, v16
	v_add_co_ci_u32_e32 v12, vcc_lo, v9, v17, vcc_lo
	s_delay_alu instid0(VALU_DEP_4) | instskip(NEXT) | instid1(VALU_DEP_1)
	v_add_co_ci_u32_e32 v15, vcc_lo, 0, v15, vcc_lo
	v_add_nc_u64_e32 v[8:9], v[12:13], v[14:15]
	s_delay_alu instid0(VALU_DEP_1) | instskip(NEXT) | instid1(VALU_DEP_1)
	v_mul_u64_e32 v[12:13], s[42:43], v[8:9]
	v_sub_nc_u32_e32 v14, v11, v13
	s_delay_alu instid0(VALU_DEP_2) | instskip(NEXT) | instid1(VALU_DEP_1)
	v_sub_co_u32 v12, vcc_lo, v10, v12
	v_sub_co_ci_u32_e64 v19, null, v11, v13, vcc_lo
	s_delay_alu instid0(VALU_DEP_3) | instskip(NEXT) | instid1(VALU_DEP_3)
	v_subrev_co_ci_u32_e64 v14, null, s43, v14, vcc_lo
	v_sub_co_u32 v16, s0, v12, s42
	v_cmp_le_u32_e32 vcc_lo, s42, v12
	s_delay_alu instid0(VALU_DEP_3) | instskip(NEXT) | instid1(VALU_DEP_3)
	v_subrev_co_ci_u32_e64 v17, null, 0, v14, s0
	v_cmp_le_u32_e64 s0, s42, v16
	v_add_nc_u64_e32 v[14:15], 2, v[8:9]
	v_cndmask_b32_e64 v20, 0, -1, vcc_lo
	s_delay_alu instid0(VALU_DEP_4) | instskip(SKIP_3) | instid1(VALU_DEP_1)
	v_cmp_eq_u32_e32 vcc_lo, s43, v17
	v_add_nc_u64_e32 v[12:13], 1, v[8:9]
	v_cndmask_b32_e64 v16, 0, -1, s0
	v_cmp_le_u32_e64 s0, s43, v17
	v_cndmask_b32_e64 v18, 0, -1, s0
	v_cmp_eq_u32_e64 s0, s43, v19
	s_delay_alu instid0(VALU_DEP_2) | instskip(SKIP_2) | instid1(VALU_DEP_3)
	v_cndmask_b32_e32 v16, v18, v16, vcc_lo
	v_cmp_le_u32_e32 vcc_lo, s43, v19
	v_cndmask_b32_e64 v17, 0, -1, vcc_lo
	v_cmp_ne_u32_e32 vcc_lo, 0, v16
	s_delay_alu instid0(VALU_DEP_2) | instskip(SKIP_1) | instid1(VALU_DEP_2)
	v_dual_cndmask_b32 v16, v17, v20, s0 :: v_dual_cndmask_b32 v12, v12, v14, vcc_lo
	v_cndmask_b32_e32 v13, v13, v15, vcc_lo
	v_cmp_ne_u32_e32 vcc_lo, 0, v16
	s_delay_alu instid0(VALU_DEP_2)
	v_dual_cndmask_b32 v8, v8, v12 :: v_dual_cndmask_b32 v9, v9, v13
.LBB2_78:                               ;   in Loop: Header=BB2_68 Depth=1
	s_and_not1_saveexec_b32 s0, s50
	s_cbranch_execz .LBB2_80
; %bb.79:                               ;   in Loop: Header=BB2_68 Depth=1
	v_cvt_f32_u32_e32 v8, s42
	s_sub_co_i32 s50, 0, s42
	s_delay_alu instid0(VALU_DEP_1) | instskip(SKIP_1) | instid1(TRANS32_DEP_1)
	v_rcp_iflag_f32_e32 v8, v8
	v_nop
	v_mul_f32_e32 v8, 0x4f7ffffe, v8
	s_delay_alu instid0(VALU_DEP_1) | instskip(NEXT) | instid1(VALU_DEP_1)
	v_cvt_u32_f32_e32 v8, v8
	v_mul_lo_u32 v9, s50, v8
	s_delay_alu instid0(VALU_DEP_1) | instskip(NEXT) | instid1(VALU_DEP_1)
	v_mul_hi_u32 v9, v8, v9
	v_add_nc_u32_e32 v8, v8, v9
	s_delay_alu instid0(VALU_DEP_1) | instskip(NEXT) | instid1(VALU_DEP_1)
	v_mul_hi_u32 v8, v10, v8
	v_mul_lo_u32 v9, v8, s42
	s_delay_alu instid0(VALU_DEP_1) | instskip(NEXT) | instid1(VALU_DEP_1)
	v_sub_nc_u32_e32 v9, v10, v9
	v_subrev_nc_u32_e32 v13, s42, v9
	v_cmp_le_u32_e32 vcc_lo, s42, v9
	s_delay_alu instid0(VALU_DEP_2) | instskip(NEXT) | instid1(VALU_DEP_1)
	v_dual_cndmask_b32 v9, v9, v13 :: v_dual_add_nc_u32 v12, 1, v8
	v_cndmask_b32_e32 v8, v8, v12, vcc_lo
	s_delay_alu instid0(VALU_DEP_2) | instskip(NEXT) | instid1(VALU_DEP_2)
	v_cmp_le_u32_e32 vcc_lo, s42, v9
	v_dual_mov_b32 v9, 0 :: v_dual_add_nc_u32 v12, 1, v8
	s_delay_alu instid0(VALU_DEP_1)
	v_cndmask_b32_e32 v8, v8, v12, vcc_lo
.LBB2_80:                               ;   in Loop: Header=BB2_68 Depth=1
	s_or_b32 exec_lo, exec_lo, s0
	s_delay_alu instid0(VALU_DEP_1) | instskip(SKIP_1) | instid1(VALU_DEP_1)
	v_mul_u64_e32 v[12:13], s[42:43], v[8:9]
                                        ; implicit-def: $vgpr14_vgpr15
	s_mov_b32 s0, exec_lo
	v_sub_nc_u64_e32 v[10:11], v[10:11], v[12:13]
	s_delay_alu instid0(VALU_DEP_1) | instskip(NEXT) | instid1(VALU_DEP_1)
	v_dual_mov_b32 v12, 0 :: v_dual_bitop2_b32 v13, s35, v11 bitop3:0x54
	v_cmpx_ne_u64_e32 0, v[12:13]
	s_xor_b32 s50, exec_lo, s0
	s_cbranch_execz .LBB2_82
; %bb.81:                               ;   in Loop: Header=BB2_68 Depth=1
	s_cvt_f32_u32 s0, s34
	s_cvt_f32_u32 s51, s35
	s_sub_nc_u64 s[54:55], 0, s[34:35]
	s_mov_b32 s59, 0
	v_dual_mov_b32 v14, v10 :: v_dual_mov_b32 v15, v12
	s_fmamk_f32 s0, s51, 0x4f800000, s0
	v_dual_mov_b32 v16, v11 :: v_dual_mov_b32 v17, v12
	v_dual_mov_b32 v21, v12 :: v_dual_mov_b32 v13, v12
	s_delay_alu instid0(SALU_CYCLE_1) | instskip(NEXT) | instid1(TRANS32_DEP_1)
	v_s_rcp_f32 s0, s0
	s_mul_f32 s0, s0, 0x5f7ffffc
	s_delay_alu instid0(SALU_CYCLE_3) | instskip(NEXT) | instid1(SALU_CYCLE_3)
	s_mul_f32 s51, s0, 0x2f800000
	s_trunc_f32 s51, s51
	s_delay_alu instid0(SALU_CYCLE_3) | instskip(SKIP_1) | instid1(SALU_CYCLE_2)
	s_fmamk_f32 s0, s51, 0xcf800000, s0
	s_cvt_u32_f32 s53, s51
	s_cvt_u32_f32 s52, s0
	s_delay_alu instid0(SALU_CYCLE_3) | instskip(NEXT) | instid1(SALU_CYCLE_1)
	s_mul_u64 s[56:57], s[54:55], s[52:53]
	s_mul_hi_u32 s61, s52, s57
	s_mul_i32 s60, s52, s57
	s_mul_hi_u32 s58, s52, s56
	s_mul_i32 s51, s53, s56
	s_add_nc_u64 s[60:61], s[58:59], s[60:61]
	s_mul_hi_u32 s0, s53, s56
	s_mul_hi_u32 s62, s53, s57
	s_add_co_u32 s51, s60, s51
	s_add_co_ci_u32 s58, s61, s0
	s_mul_i32 s56, s53, s57
	s_add_co_ci_u32 s57, s62, 0
	s_delay_alu instid0(SALU_CYCLE_1) | instskip(NEXT) | instid1(SALU_CYCLE_1)
	s_add_nc_u64 s[56:57], s[58:59], s[56:57]
	s_add_co_u32 s52, s52, s56
	s_cselect_b32 s0, -1, 0
	s_delay_alu instid0(SALU_CYCLE_1) | instskip(SKIP_1) | instid1(SALU_CYCLE_1)
	s_cmp_lg_u32 s0, 0
	s_add_co_ci_u32 s53, s53, s57
	s_mul_u64 s[54:55], s[54:55], s[52:53]
	s_delay_alu instid0(SALU_CYCLE_1)
	s_mul_hi_u32 s57, s52, s55
	s_mul_i32 s56, s52, s55
	s_mul_hi_u32 s58, s52, s54
	s_mul_i32 s51, s53, s54
	s_add_nc_u64 s[56:57], s[58:59], s[56:57]
	s_mul_hi_u32 s0, s53, s54
	s_mul_hi_u32 s60, s53, s55
	s_add_co_u32 s51, s56, s51
	s_add_co_ci_u32 s58, s57, s0
	s_mul_i32 s54, s53, s55
	s_add_co_ci_u32 s55, s60, 0
	s_delay_alu instid0(SALU_CYCLE_1) | instskip(NEXT) | instid1(SALU_CYCLE_1)
	s_add_nc_u64 s[54:55], s[58:59], s[54:55]
	s_add_co_u32 s0, s52, s54
	s_cselect_b32 s51, -1, 0
	v_nop
	v_mul_hi_u32 v20, v10, s0
	s_cmp_lg_u32 s51, 0
	s_add_co_ci_u32 s58, s53, s55
	s_mov_b64 s[52:53], 0xffffffff
	v_mul_u64_e32 v[14:15], s[58:59], v[14:15]
	s_and_b64 s[52:53], s[0:1], s[52:53]
	s_delay_alu instid0(SALU_CYCLE_1) | instskip(SKIP_1) | instid1(VALU_DEP_3)
	v_mul_u64_e32 v[18:19], s[52:53], v[16:17]
	v_mul_u64_e32 v[16:17], s[58:59], v[16:17]
	v_add_nc_u64_e32 v[14:15], v[20:21], v[14:15]
	s_delay_alu instid0(VALU_DEP_1) | instskip(NEXT) | instid1(VALU_DEP_2)
	v_add_co_u32 v12, vcc_lo, v14, v18
	v_add_co_ci_u32_e32 v12, vcc_lo, v15, v19, vcc_lo
	s_delay_alu instid0(VALU_DEP_4) | instskip(NEXT) | instid1(VALU_DEP_1)
	v_add_co_ci_u32_e32 v17, vcc_lo, 0, v17, vcc_lo
	v_add_nc_u64_e32 v[12:13], v[12:13], v[16:17]
	s_delay_alu instid0(VALU_DEP_1) | instskip(NEXT) | instid1(VALU_DEP_1)
	v_mul_u64_e32 v[14:15], s[34:35], v[12:13]
	v_sub_nc_u32_e32 v16, v11, v15
	s_delay_alu instid0(VALU_DEP_2) | instskip(NEXT) | instid1(VALU_DEP_1)
	v_sub_co_u32 v14, vcc_lo, v10, v14
	v_sub_co_ci_u32_e64 v21, null, v11, v15, vcc_lo
	s_delay_alu instid0(VALU_DEP_3) | instskip(NEXT) | instid1(VALU_DEP_3)
	v_subrev_co_ci_u32_e64 v16, null, s35, v16, vcc_lo
	v_sub_co_u32 v18, s0, v14, s34
	v_cmp_le_u32_e32 vcc_lo, s34, v14
	s_delay_alu instid0(VALU_DEP_3) | instskip(NEXT) | instid1(VALU_DEP_3)
	v_subrev_co_ci_u32_e64 v19, null, 0, v16, s0
	v_cmp_le_u32_e64 s0, s34, v18
	v_add_nc_u64_e32 v[16:17], 2, v[12:13]
	v_cndmask_b32_e64 v22, 0, -1, vcc_lo
	s_delay_alu instid0(VALU_DEP_4) | instskip(SKIP_3) | instid1(VALU_DEP_1)
	v_cmp_eq_u32_e32 vcc_lo, s35, v19
	v_add_nc_u64_e32 v[14:15], 1, v[12:13]
	v_cndmask_b32_e64 v18, 0, -1, s0
	v_cmp_le_u32_e64 s0, s35, v19
	v_cndmask_b32_e64 v20, 0, -1, s0
	v_cmp_eq_u32_e64 s0, s35, v21
	s_delay_alu instid0(VALU_DEP_2) | instskip(SKIP_2) | instid1(VALU_DEP_3)
	v_cndmask_b32_e32 v18, v20, v18, vcc_lo
	v_cmp_le_u32_e32 vcc_lo, s35, v21
	v_cndmask_b32_e64 v19, 0, -1, vcc_lo
	v_cmp_ne_u32_e32 vcc_lo, 0, v18
	s_delay_alu instid0(VALU_DEP_2) | instskip(SKIP_1) | instid1(VALU_DEP_2)
	v_dual_cndmask_b32 v18, v19, v22, s0 :: v_dual_cndmask_b32 v14, v14, v16, vcc_lo
	v_cndmask_b32_e32 v15, v15, v17, vcc_lo
	v_cmp_ne_u32_e32 vcc_lo, 0, v18
	s_delay_alu instid0(VALU_DEP_2)
	v_dual_cndmask_b32 v14, v12, v14 :: v_dual_cndmask_b32 v15, v13, v15
.LBB2_82:                               ;   in Loop: Header=BB2_68 Depth=1
	s_and_not1_saveexec_b32 s0, s50
	s_cbranch_execz .LBB2_67
; %bb.83:                               ;   in Loop: Header=BB2_68 Depth=1
	v_cvt_f32_u32_e32 v12, s34
	s_sub_co_i32 s50, 0, s34
	s_delay_alu instid0(VALU_DEP_1) | instskip(SKIP_1) | instid1(TRANS32_DEP_1)
	v_rcp_iflag_f32_e32 v12, v12
	v_nop
	v_mul_f32_e32 v12, 0x4f7ffffe, v12
	s_delay_alu instid0(VALU_DEP_1) | instskip(NEXT) | instid1(VALU_DEP_1)
	v_cvt_u32_f32_e32 v12, v12
	v_mul_lo_u32 v13, s50, v12
	s_delay_alu instid0(VALU_DEP_1) | instskip(NEXT) | instid1(VALU_DEP_1)
	v_mul_hi_u32 v13, v12, v13
	v_add_nc_u32_e32 v12, v12, v13
	s_delay_alu instid0(VALU_DEP_1) | instskip(NEXT) | instid1(VALU_DEP_1)
	v_mul_hi_u32 v12, v10, v12
	v_mul_lo_u32 v13, v12, s34
	s_delay_alu instid0(VALU_DEP_1) | instskip(NEXT) | instid1(VALU_DEP_1)
	v_dual_add_nc_u32 v14, 1, v12 :: v_dual_sub_nc_u32 v13, v10, v13
	v_subrev_nc_u32_e32 v15, s34, v13
	v_cmp_le_u32_e32 vcc_lo, s34, v13
	s_delay_alu instid0(VALU_DEP_2) | instskip(NEXT) | instid1(VALU_DEP_4)
	v_dual_cndmask_b32 v13, v13, v15, vcc_lo :: v_dual_mov_b32 v15, 0
	v_cndmask_b32_e32 v12, v12, v14, vcc_lo
	s_delay_alu instid0(VALU_DEP_2) | instskip(NEXT) | instid1(VALU_DEP_2)
	v_cmp_le_u32_e32 vcc_lo, s34, v13
	v_add_nc_u32_e32 v14, 1, v12
	s_delay_alu instid0(VALU_DEP_1)
	v_cndmask_b32_e32 v14, v12, v14, vcc_lo
	s_branch .LBB2_67
	.section	.rodata,"a",@progbits
	.p2align	6, 0x0
	.amdhsa_kernel VectorizedTranspose
		.amdhsa_group_segment_fixed_size 0
		.amdhsa_private_segment_fixed_size 0
		.amdhsa_kernarg_size 400
		.amdhsa_user_sgpr_count 2
		.amdhsa_user_sgpr_dispatch_ptr 0
		.amdhsa_user_sgpr_queue_ptr 0
		.amdhsa_user_sgpr_kernarg_segment_ptr 1
		.amdhsa_user_sgpr_dispatch_id 0
		.amdhsa_user_sgpr_kernarg_preload_length 0
		.amdhsa_user_sgpr_kernarg_preload_offset 0
		.amdhsa_user_sgpr_private_segment_size 0
		.amdhsa_wavefront_size32 1
		.amdhsa_uses_dynamic_stack 0
		.amdhsa_enable_private_segment 0
		.amdhsa_system_sgpr_workgroup_id_x 1
		.amdhsa_system_sgpr_workgroup_id_y 0
		.amdhsa_system_sgpr_workgroup_id_z 0
		.amdhsa_system_sgpr_workgroup_info 0
		.amdhsa_system_vgpr_workitem_id 0
		.amdhsa_next_free_vgpr 26
		.amdhsa_next_free_sgpr 63
		.amdhsa_named_barrier_count 0
		.amdhsa_reserve_vcc 1
		.amdhsa_float_round_mode_32 0
		.amdhsa_float_round_mode_16_64 0
		.amdhsa_float_denorm_mode_32 3
		.amdhsa_float_denorm_mode_16_64 3
		.amdhsa_fp16_overflow 0
		.amdhsa_memory_ordered 1
		.amdhsa_forward_progress 1
		.amdhsa_inst_pref_size 101
		.amdhsa_round_robin_scheduling 0
		.amdhsa_exception_fp_ieee_invalid_op 0
		.amdhsa_exception_fp_denorm_src 0
		.amdhsa_exception_fp_ieee_div_zero 0
		.amdhsa_exception_fp_ieee_overflow 0
		.amdhsa_exception_fp_ieee_underflow 0
		.amdhsa_exception_fp_ieee_inexact 0
		.amdhsa_exception_int_div_zero 0
	.end_amdhsa_kernel
	.text
.Lfunc_end2:
	.size	VectorizedTranspose, .Lfunc_end2-VectorizedTranspose
                                        ; -- End function
	.set VectorizedTranspose.num_vgpr, 26
	.set VectorizedTranspose.num_agpr, 0
	.set VectorizedTranspose.numbered_sgpr, 63
	.set VectorizedTranspose.num_named_barrier, 0
	.set VectorizedTranspose.private_seg_size, 0
	.set VectorizedTranspose.uses_vcc, 1
	.set VectorizedTranspose.uses_flat_scratch, 0
	.set VectorizedTranspose.has_dyn_sized_stack, 0
	.set VectorizedTranspose.has_recursion, 0
	.set VectorizedTranspose.has_indirect_call, 0
	.section	.AMDGPU.csdata,"",@progbits
; Kernel info:
; codeLenInByte = 12904
; TotalNumSgprs: 65
; NumVgprs: 26
; ScratchSize: 0
; MemoryBound: 0
; FloatMode: 240
; IeeeMode: 1
; LDSByteSize: 0 bytes/workgroup (compile time only)
; SGPRBlocks: 0
; VGPRBlocks: 1
; NumSGPRsForWavesPerEU: 65
; NumVGPRsForWavesPerEU: 26
; NamedBarCnt: 0
; Occupancy: 16
; WaveLimiterHint : 0
; COMPUTE_PGM_RSRC2:SCRATCH_EN: 0
; COMPUTE_PGM_RSRC2:USER_SGPR: 2
; COMPUTE_PGM_RSRC2:TRAP_HANDLER: 0
; COMPUTE_PGM_RSRC2:TGID_X_EN: 1
; COMPUTE_PGM_RSRC2:TGID_Y_EN: 0
; COMPUTE_PGM_RSRC2:TGID_Z_EN: 0
; COMPUTE_PGM_RSRC2:TIDIG_COMP_CNT: 0
	.text
	.p2alignl 7, 3214868480
	.fill 96, 4, 3214868480
	.section	.AMDGPU.gpr_maximums,"",@progbits
	.set amdgpu.max_num_vgpr, 0
	.set amdgpu.max_num_agpr, 0
	.set amdgpu.max_num_sgpr, 0
	.text
	.type	__hip_cuid_4d9d564d3ae6b9ec,@object ; @__hip_cuid_4d9d564d3ae6b9ec
	.section	.bss,"aw",@nobits
	.globl	__hip_cuid_4d9d564d3ae6b9ec
__hip_cuid_4d9d564d3ae6b9ec:
	.byte	0                               ; 0x0
	.size	__hip_cuid_4d9d564d3ae6b9ec, 1

	.ident	"AMD clang version 22.0.0git (https://github.com/RadeonOpenCompute/llvm-project roc-7.2.4 26084 f58b06dce1f9c15707c5f808fd002e18c2accf7e)"
	.section	".note.GNU-stack","",@progbits
	.addrsig
	.addrsig_sym __hip_cuid_4d9d564d3ae6b9ec
	.amdgpu_metadata
---
amdhsa.kernels:
  - .args:
      - .actual_access:  read_only
        .address_space:  global
        .offset:         0
        .size:           8
        .value_kind:     global_buffer
      - .actual_access:  write_only
        .address_space:  global
        .offset:         8
        .size:           8
        .value_kind:     global_buffer
      - .offset:         16
        .size:           8
        .value_kind:     by_value
      - .offset:         24
        .size:           8
        .value_kind:     by_value
      - .offset:         32
        .size:           8
        .value_kind:     by_value
      - .offset:         40
        .size:           8
        .value_kind:     by_value
      - .offset:         48
        .size:           8
        .value_kind:     by_value
      - .offset:         56
        .size:           8
        .value_kind:     by_value
      - .offset:         64
        .size:           8
        .value_kind:     by_value
      - .offset:         72
        .size:           8
        .value_kind:     by_value
      - .offset:         80
        .size:           8
        .value_kind:     by_value
      - .offset:         88
        .size:           8
        .value_kind:     by_value
      - .offset:         96
        .size:           8
        .value_kind:     by_value
      - .offset:         104
        .size:           8
        .value_kind:     by_value
      - .offset:         112
        .size:           8
        .value_kind:     by_value
      - .offset:         120
        .size:           8
        .value_kind:     by_value
      - .offset:         128
        .size:           8
        .value_kind:     by_value
      - .offset:         136
        .size:           4
        .value_kind:     hidden_block_count_x
      - .offset:         140
        .size:           4
        .value_kind:     hidden_block_count_y
      - .offset:         144
        .size:           4
        .value_kind:     hidden_block_count_z
      - .offset:         148
        .size:           2
        .value_kind:     hidden_group_size_x
      - .offset:         150
        .size:           2
        .value_kind:     hidden_group_size_y
      - .offset:         152
        .size:           2
        .value_kind:     hidden_group_size_z
      - .offset:         154
        .size:           2
        .value_kind:     hidden_remainder_x
      - .offset:         156
        .size:           2
        .value_kind:     hidden_remainder_y
      - .offset:         158
        .size:           2
        .value_kind:     hidden_remainder_z
      - .offset:         176
        .size:           8
        .value_kind:     hidden_global_offset_x
      - .offset:         184
        .size:           8
        .value_kind:     hidden_global_offset_y
      - .offset:         192
        .size:           8
        .value_kind:     hidden_global_offset_z
      - .offset:         200
        .size:           2
        .value_kind:     hidden_grid_dims
    .group_segment_fixed_size: 0
    .kernarg_segment_align: 8
    .kernarg_segment_size: 392
    .language:       OpenCL C
    .language_version:
      - 2
      - 0
    .max_flat_workgroup_size: 256
    .name:           UniversalTranspose
    .private_segment_fixed_size: 0
    .sgpr_count:     54
    .sgpr_spill_count: 0
    .symbol:         UniversalTranspose.kd
    .uniform_work_group_size: 1
    .uses_dynamic_stack: false
    .vgpr_count:     24
    .vgpr_spill_count: 0
    .wavefront_size: 32
  - .args:
      - .actual_access:  read_only
        .address_space:  global
        .offset:         0
        .size:           8
        .value_kind:     global_buffer
      - .actual_access:  write_only
        .address_space:  global
        .offset:         8
        .size:           8
        .value_kind:     global_buffer
      - .offset:         16
        .size:           8
        .value_kind:     by_value
      - .offset:         24
        .size:           8
        .value_kind:     by_value
      - .offset:         32
        .size:           8
        .value_kind:     by_value
      - .offset:         40
        .size:           8
        .value_kind:     by_value
      - .offset:         48
        .size:           8
        .value_kind:     by_value
      - .offset:         56
        .size:           8
        .value_kind:     by_value
      - .offset:         64
        .size:           8
        .value_kind:     by_value
      - .offset:         72
        .size:           8
        .value_kind:     by_value
      - .offset:         80
        .size:           8
        .value_kind:     by_value
      - .offset:         88
        .size:           8
        .value_kind:     by_value
      - .offset:         96
        .size:           8
        .value_kind:     by_value
      - .offset:         104
        .size:           8
        .value_kind:     by_value
      - .offset:         112
        .size:           8
        .value_kind:     by_value
      - .offset:         120
        .size:           8
        .value_kind:     by_value
      - .offset:         128
        .size:           8
        .value_kind:     by_value
      - .offset:         136
        .size:           4
        .value_kind:     hidden_block_count_x
      - .offset:         140
        .size:           4
        .value_kind:     hidden_block_count_y
      - .offset:         144
        .size:           4
        .value_kind:     hidden_block_count_z
      - .offset:         148
        .size:           2
        .value_kind:     hidden_group_size_x
      - .offset:         150
        .size:           2
        .value_kind:     hidden_group_size_y
      - .offset:         152
        .size:           2
        .value_kind:     hidden_group_size_z
      - .offset:         154
        .size:           2
        .value_kind:     hidden_remainder_x
      - .offset:         156
        .size:           2
        .value_kind:     hidden_remainder_y
      - .offset:         158
        .size:           2
        .value_kind:     hidden_remainder_z
      - .offset:         176
        .size:           8
        .value_kind:     hidden_global_offset_x
      - .offset:         184
        .size:           8
        .value_kind:     hidden_global_offset_y
      - .offset:         192
        .size:           8
        .value_kind:     hidden_global_offset_z
      - .offset:         200
        .size:           2
        .value_kind:     hidden_grid_dims
    .group_segment_fixed_size: 1088
    .kernarg_segment_align: 8
    .kernarg_segment_size: 392
    .language:       OpenCL C
    .language_version:
      - 2
      - 0
    .max_flat_workgroup_size: 256
    .name:           TiledTranspose
    .private_segment_fixed_size: 0
    .sgpr_count:     76
    .sgpr_spill_count: 0
    .symbol:         TiledTranspose.kd
    .uniform_work_group_size: 1
    .uses_dynamic_stack: false
    .vgpr_count:     15
    .vgpr_spill_count: 0
    .wavefront_size: 32
  - .args:
      - .actual_access:  read_only
        .address_space:  global
        .offset:         0
        .size:           8
        .value_kind:     global_buffer
      - .actual_access:  write_only
        .address_space:  global
        .offset:         8
        .size:           8
        .value_kind:     global_buffer
      - .offset:         16
        .size:           8
        .value_kind:     by_value
      - .offset:         24
        .size:           8
        .value_kind:     by_value
      - .offset:         32
        .size:           8
        .value_kind:     by_value
      - .offset:         40
        .size:           8
        .value_kind:     by_value
      - .offset:         48
        .size:           8
        .value_kind:     by_value
      - .offset:         56
        .size:           8
        .value_kind:     by_value
      - .offset:         64
        .size:           8
        .value_kind:     by_value
      - .offset:         72
        .size:           8
        .value_kind:     by_value
      - .offset:         80
        .size:           8
        .value_kind:     by_value
      - .offset:         88
        .size:           8
        .value_kind:     by_value
      - .offset:         96
        .size:           8
        .value_kind:     by_value
      - .offset:         104
        .size:           8
        .value_kind:     by_value
      - .offset:         112
        .size:           8
        .value_kind:     by_value
      - .offset:         120
        .size:           8
        .value_kind:     by_value
      - .offset:         128
        .size:           8
        .value_kind:     by_value
      - .offset:         136
        .size:           1
        .value_kind:     by_value
      - .offset:         137
        .size:           1
        .value_kind:     by_value
      - .offset:         144
        .size:           4
        .value_kind:     hidden_block_count_x
      - .offset:         148
        .size:           4
        .value_kind:     hidden_block_count_y
      - .offset:         152
        .size:           4
        .value_kind:     hidden_block_count_z
      - .offset:         156
        .size:           2
        .value_kind:     hidden_group_size_x
      - .offset:         158
        .size:           2
        .value_kind:     hidden_group_size_y
      - .offset:         160
        .size:           2
        .value_kind:     hidden_group_size_z
      - .offset:         162
        .size:           2
        .value_kind:     hidden_remainder_x
      - .offset:         164
        .size:           2
        .value_kind:     hidden_remainder_y
      - .offset:         166
        .size:           2
        .value_kind:     hidden_remainder_z
      - .offset:         184
        .size:           8
        .value_kind:     hidden_global_offset_x
      - .offset:         192
        .size:           8
        .value_kind:     hidden_global_offset_y
      - .offset:         200
        .size:           8
        .value_kind:     hidden_global_offset_z
      - .offset:         208
        .size:           2
        .value_kind:     hidden_grid_dims
    .group_segment_fixed_size: 0
    .kernarg_segment_align: 8
    .kernarg_segment_size: 400
    .language:       OpenCL C
    .language_version:
      - 2
      - 0
    .max_flat_workgroup_size: 256
    .name:           VectorizedTranspose
    .private_segment_fixed_size: 0
    .sgpr_count:     65
    .sgpr_spill_count: 0
    .symbol:         VectorizedTranspose.kd
    .uniform_work_group_size: 1
    .uses_dynamic_stack: false
    .vgpr_count:     26
    .vgpr_spill_count: 0
    .wavefront_size: 32
amdhsa.target:   amdgcn-amd-amdhsa--gfx1250
amdhsa.version:
  - 1
  - 2
...

	.end_amdgpu_metadata
